;; amdgpu-corpus repo=ROCm/rocFFT kind=compiled arch=gfx1030 opt=O3
	.text
	.amdgcn_target "amdgcn-amd-amdhsa--gfx1030"
	.amdhsa_code_object_version 6
	.protected	bluestein_single_back_len1734_dim1_sp_op_CI_CI ; -- Begin function bluestein_single_back_len1734_dim1_sp_op_CI_CI
	.globl	bluestein_single_back_len1734_dim1_sp_op_CI_CI
	.p2align	8
	.type	bluestein_single_back_len1734_dim1_sp_op_CI_CI,@function
bluestein_single_back_len1734_dim1_sp_op_CI_CI: ; @bluestein_single_back_len1734_dim1_sp_op_CI_CI
; %bb.0:
	s_load_dwordx4 s[12:15], s[4:5], 0x28
	v_mul_u32_u24_e32 v1, 0x283, v0
	v_mov_b32_e32 v101, 0
	s_mov_b32 s0, exec_lo
	v_lshrrev_b32_e32 v1, 16, v1
	v_add_nc_u32_e32 v100, s6, v1
	s_waitcnt lgkmcnt(0)
	v_cmpx_gt_u64_e64 s[12:13], v[100:101]
	s_cbranch_execz .LBB0_10
; %bb.1:
	s_clause 0x1
	s_load_dwordx4 s[8:11], s[4:5], 0x18
	s_load_dwordx4 s[0:3], s[4:5], 0x0
	v_mul_lo_u16 v1, 0x66, v1
	s_load_dwordx2 s[4:5], s[4:5], 0x38
	v_sub_nc_u16 v34, v0, v1
	v_and_b32_e32 v136, 0xffff, v34
	v_lshlrev_b32_e32 v135, 3, v136
	s_waitcnt lgkmcnt(0)
	s_load_dwordx4 s[16:19], s[8:9], 0x0
	s_clause 0x2
	global_load_dwordx2 v[103:104], v135, s[0:1]
	global_load_dwordx2 v[105:106], v135, s[0:1] offset:816
	global_load_dwordx2 v[101:102], v135, s[0:1] offset:1632
	v_add_co_u32 v137, s6, s0, v135
	v_add_co_ci_u32_e64 v138, null, s1, 0, s6
	v_add_nc_u32_e32 v41, 0x400, v135
	v_add_co_u32 v0, vcc_lo, 0x800, v137
	v_add_co_ci_u32_e32 v1, vcc_lo, 0, v138, vcc_lo
	v_add_co_u32 v4, vcc_lo, 0x1000, v137
	v_add_co_ci_u32_e32 v5, vcc_lo, 0, v138, vcc_lo
	v_add_co_u32 v8, vcc_lo, 0x1800, v137
	v_add_co_ci_u32_e32 v9, vcc_lo, 0, v138, vcc_lo
	s_waitcnt lgkmcnt(0)
	v_mad_u64_u32 v[2:3], null, s18, v100, 0
	v_mad_u64_u32 v[6:7], null, s16, v136, 0
	v_add_co_u32 v10, vcc_lo, 0x2000, v137
	v_add_co_ci_u32_e32 v11, vcc_lo, 0, v138, vcc_lo
	v_mad_u64_u32 v[12:13], null, s19, v100, v[3:4]
	v_mad_u64_u32 v[15:16], null, s17, v136, v[7:8]
	v_add_co_u32 v13, vcc_lo, 0x2800, v137
	s_clause 0x2
	global_load_dwordx2 v[121:122], v[0:1], off offset:400
	global_load_dwordx2 v[119:120], v[0:1], off offset:1216
	;; [unrolled: 1-line block ×3, first 2 shown]
	v_add_co_ci_u32_e32 v14, vcc_lo, 0, v138, vcc_lo
	v_mov_b32_e32 v3, v12
	v_mov_b32_e32 v7, v15
	v_add_co_u32 v80, vcc_lo, 0x3000, v137
	v_add_co_ci_u32_e32 v81, vcc_lo, 0, v138, vcc_lo
	v_lshlrev_b64 v[0:1], 3, v[2:3]
	v_lshlrev_b64 v[2:3], 3, v[6:7]
	s_mul_i32 s0, s17, 0x330
	s_mul_hi_u32 s1, s16, 0x330
	s_mul_i32 s6, s16, 0x330
	s_add_i32 s1, s1, s0
	v_add_co_u32 v0, vcc_lo, s14, v0
	v_add_co_ci_u32_e32 v1, vcc_lo, s15, v1, vcc_lo
	s_clause 0x1
	global_load_dwordx2 v[115:116], v[4:5], off offset:800
	global_load_dwordx2 v[113:114], v[4:5], off offset:1616
	v_add_co_u32 v0, vcc_lo, v0, v2
	v_add_co_ci_u32_e32 v1, vcc_lo, v1, v3, vcc_lo
	s_clause 0x2
	global_load_dwordx2 v[111:112], v[8:9], off offset:384
	global_load_dwordx2 v[109:110], v[8:9], off offset:1200
	;; [unrolled: 1-line block ×3, first 2 shown]
	v_add_co_u32 v2, vcc_lo, v0, s6
	v_add_co_ci_u32_e32 v3, vcc_lo, s1, v1, vcc_lo
	s_clause 0x1
	global_load_dwordx2 v[98:99], v[10:11], off offset:784
	global_load_dwordx2 v[90:91], v[10:11], off offset:1600
	v_add_co_u32 v4, vcc_lo, v2, s6
	v_add_co_ci_u32_e32 v5, vcc_lo, s1, v3, vcc_lo
	s_clause 0x1
	global_load_dwordx2 v[92:93], v[13:14], off offset:368
	global_load_dwordx2 v[88:89], v[13:14], off offset:1184
	v_add_co_u32 v6, vcc_lo, v4, s6
	v_add_co_ci_u32_e32 v7, vcc_lo, s1, v5, vcc_lo
	v_add_nc_u32_e32 v40, 0x1c00, v135
	v_add_co_u32 v8, vcc_lo, v6, s6
	v_add_co_ci_u32_e32 v9, vcc_lo, s1, v7, vcc_lo
	s_clause 0x3
	global_load_dwordx2 v[0:1], v[0:1], off
	global_load_dwordx2 v[2:3], v[2:3], off
	;; [unrolled: 1-line block ×4, first 2 shown]
	v_add_co_u32 v10, vcc_lo, v8, s6
	v_add_co_ci_u32_e32 v11, vcc_lo, s1, v9, vcc_lo
	global_load_dwordx2 v[8:9], v[8:9], off
	v_add_co_u32 v15, vcc_lo, v10, s6
	v_add_co_ci_u32_e32 v16, vcc_lo, s1, v11, vcc_lo
	global_load_dwordx2 v[10:11], v[10:11], off
	;; [unrolled: 3-line block ×11, first 2 shown]
	v_add_co_u32 v37, vcc_lo, v35, s6
	v_add_co_ci_u32_e32 v38, vcc_lo, s1, v36, vcc_lo
	global_load_dwordx2 v[94:95], v[13:14], off offset:2000
	global_load_dwordx2 v[12:13], v[35:36], off
	global_load_dwordx2 v[96:97], v[80:81], off offset:768
	global_load_dwordx2 v[42:43], v[37:38], off
	v_add_nc_u32_e32 v35, 0x800, v135
	v_add_nc_u32_e32 v36, 0x1000, v135
	;; [unrolled: 1-line block ×5, first 2 shown]
	s_load_dwordx4 s[8:11], s[10:11], 0x0
	v_cmp_gt_u16_e32 vcc_lo, 0x55, v34
	s_waitcnt vmcnt(18)
	v_mul_f32_e32 v44, v1, v104
	v_mul_f32_e32 v14, v0, v104
	s_waitcnt vmcnt(17)
	v_mul_f32_e32 v46, v3, v106
	s_waitcnt vmcnt(15)
	v_mul_f32_e32 v33, v6, v122
	v_fmac_f32_e32 v44, v0, v103
	v_fma_f32 v45, v1, v103, -v14
	v_mul_f32_e32 v1, v2, v106
	v_fmac_f32_e32 v46, v2, v105
	v_mul_f32_e32 v0, v5, v102
	v_mul_f32_e32 v14, v4, v102
	;; [unrolled: 1-line block ×3, first 2 shown]
	v_fma_f32 v47, v3, v105, -v1
	v_fma_f32 v3, v7, v121, -v33
	v_fmac_f32_e32 v0, v4, v101
	v_fma_f32 v1, v5, v101, -v14
	v_fmac_f32_e32 v2, v6, v121
	s_waitcnt vmcnt(14)
	v_mul_f32_e32 v4, v9, v120
	v_mul_f32_e32 v5, v8, v120
	ds_write2_b64 v135, v[44:45], v[46:47] offset1:102
	s_waitcnt vmcnt(13)
	v_mul_f32_e32 v6, v11, v118
	ds_write2_b64 v41, v[0:1], v[2:3] offset0:76 offset1:178
	v_fmac_f32_e32 v4, v8, v119
	v_mul_f32_e32 v1, v10, v118
	s_waitcnt vmcnt(12)
	v_mul_f32_e32 v0, v16, v116
	v_mul_f32_e32 v3, v15, v116
	s_waitcnt vmcnt(11)
	v_mul_f32_e32 v2, v18, v114
	v_mul_f32_e32 v8, v17, v114
	v_fma_f32 v5, v9, v119, -v5
	v_fmac_f32_e32 v6, v10, v117
	v_fma_f32 v7, v11, v117, -v1
	v_fmac_f32_e32 v0, v15, v115
	;; [unrolled: 2-line block ×3, first 2 shown]
	v_fma_f32 v3, v18, v113, -v8
	ds_write2_b64 v35, v[4:5], v[6:7] offset0:152 offset1:254
	s_waitcnt vmcnt(10)
	v_mul_f32_e32 v8, v20, v112
	v_mul_f32_e32 v9, v19, v112
	s_waitcnt vmcnt(9)
	v_mul_f32_e32 v4, v22, v110
	ds_write2_b64 v36, v[0:1], v[2:3] offset0:100 offset1:202
	v_mul_f32_e32 v1, v21, v110
	s_waitcnt vmcnt(8)
	v_mul_f32_e32 v3, v23, v108
	v_mul_f32_e32 v0, v24, v108
	s_waitcnt vmcnt(7)
	v_mul_f32_e32 v7, v25, v99
	v_mul_f32_e32 v2, v26, v99
	v_fma_f32 v5, v22, v109, -v1
	v_fma_f32 v1, v24, v107, -v3
	v_fmac_f32_e32 v8, v19, v111
	s_waitcnt vmcnt(6)
	v_mul_f32_e32 v6, v28, v91
	v_fma_f32 v3, v26, v98, -v7
	v_mul_f32_e32 v7, v27, v91
	v_fma_f32 v9, v20, v111, -v9
	v_fmac_f32_e32 v4, v21, v109
	s_waitcnt vmcnt(5)
	v_mul_f32_e32 v10, v30, v93
	v_mul_f32_e32 v11, v29, v93
	v_fmac_f32_e32 v0, v23, v107
	v_fmac_f32_e32 v2, v25, v98
	;; [unrolled: 1-line block ×3, first 2 shown]
	s_waitcnt vmcnt(4)
	v_mul_f32_e32 v14, v32, v89
	v_mul_f32_e32 v15, v31, v89
	v_fma_f32 v7, v28, v90, -v7
	s_waitcnt vmcnt(2)
	v_mul_f32_e32 v16, v13, v95
	v_mul_f32_e32 v17, v12, v95
	s_waitcnt vmcnt(0)
	v_mul_f32_e32 v18, v43, v97
	v_mul_f32_e32 v19, v42, v97
	v_fmac_f32_e32 v10, v29, v92
	v_fma_f32 v11, v30, v92, -v11
	v_fmac_f32_e32 v14, v31, v88
	v_fma_f32 v15, v32, v88, -v15
	;; [unrolled: 2-line block ×4, first 2 shown]
	ds_write2_b64 v37, v[8:9], v[4:5] offset0:48 offset1:150
	ds_write2_b64 v40, v[0:1], v[2:3] offset0:124 offset1:226
	;; [unrolled: 1-line block ×4, first 2 shown]
	ds_write_b64 v135, v[18:19] offset:13056
	s_waitcnt lgkmcnt(0)
	s_barrier
	buffer_gl0_inv
	ds_read2_b64 v[20:23], v135 offset1:102
	ds_read_b64 v[32:33], v135 offset:13056
	ds_read2_b64 v[28:31], v41 offset0:76 offset1:178
	ds_read2_b64 v[12:15], v38 offset0:148 offset1:250
	;; [unrolled: 1-line block ×7, first 2 shown]
	s_waitcnt lgkmcnt(0)
	s_barrier
	buffer_gl0_inv
	v_add_f32_e32 v54, v20, v22
	v_add_f32_e32 v55, v21, v23
	v_sub_f32_e32 v56, v22, v32
	v_sub_f32_e32 v57, v23, v33
	v_add_f32_e32 v51, v14, v28
	v_add_f32_e32 v50, v15, v29
	v_sub_f32_e32 v58, v28, v14
	v_sub_f32_e32 v59, v29, v15
	v_add_f32_e32 v28, v54, v28
	v_add_f32_e32 v29, v55, v29
	;; [unrolled: 1-line block ×4, first 2 shown]
	v_mul_f32_e32 v54, 0xbeb8f4ab, v57
	v_mul_f32_e32 v55, 0xbeb8f4ab, v56
	;; [unrolled: 1-line block ×16, first 2 shown]
	v_add_f32_e32 v28, v28, v30
	v_add_f32_e32 v29, v29, v31
	;; [unrolled: 1-line block ×4, first 2 shown]
	v_sub_f32_e32 v60, v30, v12
	v_sub_f32_e32 v61, v31, v13
	v_add_f32_e32 v46, v18, v24
	v_add_f32_e32 v47, v19, v25
	v_sub_f32_e32 v48, v24, v18
	v_sub_f32_e32 v49, v25, v19
	v_fma_f32 v30, 0x3f6eb680, v45, -v54
	v_fmac_f32_e32 v54, 0x3f6eb680, v45
	v_fma_f32 v31, 0x3f3d2fb0, v45, -v62
	v_fmac_f32_e32 v62, 0x3f3d2fb0, v45
	;; [unrolled: 2-line block ×8, first 2 shown]
	v_fmamk_f32 v45, v23, 0x3f6eb680, v55
	v_fma_f32 v55, 0x3f6eb680, v23, -v55
	v_fmamk_f32 v159, v23, 0x3f3d2fb0, v63
	v_fma_f32 v63, 0x3f3d2fb0, v23, -v63
	;; [unrolled: 2-line block ×8, first 2 shown]
	v_add_f32_e32 v24, v28, v24
	v_add_f32_e32 v25, v29, v25
	;; [unrolled: 1-line block ×26, first 2 shown]
	v_sub_f32_e32 v43, v26, v16
	v_add_f32_e32 v23, v23, v4
	v_add_f32_e32 v24, v24, v5
	v_sub_f32_e32 v44, v27, v17
	v_mul_f32_e32 v74, 0xbf2c7751, v59
	v_mul_f32_e32 v75, 0xbf7ee86f, v59
	v_add_f32_e32 v23, v23, v6
	v_add_f32_e32 v24, v24, v7
	v_mul_f32_e32 v76, 0xbf4c4adb, v59
	v_mul_f32_e32 v77, 0xbe3c28d5, v59
	v_mul_f32_e32 v78, 0x3f06c442, v59
	v_add_f32_e32 v23, v23, v0
	v_add_f32_e32 v24, v24, v1
	v_mul_f32_e32 v79, 0x3f763a35, v59
	;; [unrolled: 5-line block ×6, first 2 shown]
	v_mul_f32_e32 v127, 0x3e3c28d5, v61
	v_mul_f32_e32 v128, 0x3f763a35, v61
	;; [unrolled: 1-line block ×10, first 2 shown]
	v_fma_f32 v56, 0x3f3d2fb0, v51, -v74
	v_fmac_f32_e32 v74, 0x3f3d2fb0, v51
	v_fma_f32 v166, 0x3dbcf732, v51, -v75
	v_fmac_f32_e32 v75, 0x3dbcf732, v51
	;; [unrolled: 2-line block ×8, first 2 shown]
	v_fmamk_f32 v51, v50, 0x3f3d2fb0, v83
	v_fma_f32 v83, 0x3f3d2fb0, v50, -v83
	v_fmamk_f32 v173, v50, 0x3dbcf732, v84
	v_fma_f32 v84, 0x3dbcf732, v50, -v84
	;; [unrolled: 2-line block ×4, first 2 shown]
	v_add_f32_e32 v31, v20, v31
	v_add_f32_e32 v64, v20, v64
	;; [unrolled: 1-line block ×4, first 2 shown]
	v_mul_f32_e32 v140, 0x3f2c7751, v60
	v_mul_f32_e32 v141, 0xbeb8f4ab, v60
	;; [unrolled: 1-line block ×8, first 2 shown]
	v_fmamk_f32 v176, v50, 0xbf59a7d5, v87
	v_fma_f32 v87, 0xbf59a7d5, v50, -v87
	v_fmamk_f32 v177, v50, 0xbe8c1d8e, v123
	v_fma_f32 v123, 0xbe8c1d8e, v50, -v123
	;; [unrolled: 2-line block ×4, first 2 shown]
	v_fma_f32 v58, 0x3ee437d1, v53, -v125
	v_fmac_f32_e32 v125, 0x3ee437d1, v53
	v_fma_f32 v180, 0xbf1a4643, v53, -v126
	v_fmac_f32_e32 v126, 0xbf1a4643, v53
	v_fma_f32 v181, 0xbf7ba420, v53, -v127
	v_fmac_f32_e32 v127, 0xbf7ba420, v53
	v_fma_f32 v182, 0xbe8c1d8e, v53, -v128
	v_fmac_f32_e32 v128, 0xbe8c1d8e, v53
	v_fma_f32 v183, 0x3f3d2fb0, v53, -v129
	v_fmac_f32_e32 v129, 0x3f3d2fb0, v53
	v_fma_f32 v184, 0x3f6eb680, v53, -v130
	v_fmac_f32_e32 v130, 0x3f6eb680, v53
	v_fma_f32 v185, 0x3dbcf732, v53, -v131
	v_fmac_f32_e32 v131, 0x3dbcf732, v53
	v_fma_f32 v186, 0xbf59a7d5, v53, -v61
	v_fmac_f32_e32 v61, 0xbf59a7d5, v53
	v_fmamk_f32 v53, v52, 0x3ee437d1, v132
	v_fma_f32 v132, 0x3ee437d1, v52, -v132
	v_fmamk_f32 v187, v52, 0xbf1a4643, v133
	v_fma_f32 v133, 0xbf1a4643, v52, -v133
	;; [unrolled: 2-line block ×4, first 2 shown]
	v_add_f32_e32 v154, v20, v154
	v_add_f32_e32 v66, v20, v66
	;; [unrolled: 1-line block ×19, first 2 shown]
	v_mul_f32_e32 v143, 0xbf7ee86f, v49
	v_mul_f32_e32 v145, 0xbe3c28d5, v49
	;; [unrolled: 1-line block ×6, first 2 shown]
	v_fmamk_f32 v190, v52, 0x3f3d2fb0, v140
	v_fma_f32 v140, 0x3f3d2fb0, v52, -v140
	v_fmamk_f32 v191, v52, 0x3f6eb680, v141
	v_fma_f32 v141, 0x3f6eb680, v52, -v141
	;; [unrolled: 2-line block ×6, first 2 shown]
	v_fma_f32 v197, 0xbe8c1d8e, v46, -v147
	v_fmamk_f32 v200, v47, 0x3f6eb680, v150
	v_fma_f32 v150, 0x3f6eb680, v47, -v150
	v_add_f32_e32 v68, v20, v68
	v_add_f32_e32 v156, v20, v156
	;; [unrolled: 1-line block ×23, first 2 shown]
	v_fma_f32 v60, 0x3dbcf732, v46, -v143
	v_fmac_f32_e32 v143, 0x3dbcf732, v46
	v_fma_f32 v195, 0xbf7ba420, v46, -v145
	v_fmac_f32_e32 v145, 0xbf7ba420, v46
	v_fmamk_f32 v198, v47, 0xbe8c1d8e, v148
	v_fmac_f32_e32 v147, 0xbe8c1d8e, v46
	v_fma_f32 v199, 0x3f6eb680, v46, -v149
	v_fmac_f32_e32 v149, 0x3f6eb680, v46
	v_add_f32_e32 v67, v78, v68
	v_add_f32_e32 v74, v177, v161
	v_add_f32_e32 v78, v179, v163
	v_add_f32_e32 v20, v59, v20
	v_add_f32_e32 v26, v53, v26
	v_add_f32_e32 v27, v125, v27
	v_add_f32_e32 v29, v180, v29
	v_add_f32_e32 v31, v126, v31
	v_add_f32_e32 v53, v127, v55
	v_add_f32_e32 v55, v182, v57
	v_add_f32_e32 v57, v128, v63
	v_add_f32_e32 v59, v183, v65
	v_add_f32_e32 v62, v190, v66
	v_add_f32_e32 v21, v52, v21
	v_add_f32_e32 v24, v144, v28
	v_add_f32_e32 v18, v196, v30
	v_add_f32_e32 v28, v146, v45
	v_add_f32_e32 v16, v197, v50
	v_add_f32_e32 v30, v200, v56
	v_add_f32_e32 v12, v12, v32
	v_add_f32_e32 v13, v13, v33
	v_fma_f32 v32, 0x3ee437d1, v46, -v151
	v_add_f32_e32 v33, v150, v58
	v_fmamk_f32 v45, v47, 0x3ee437d1, v152
	v_mul_f32_e32 v50, 0xbf06c442, v49
	v_mul_f32_e32 v52, 0xbf06c442, v48
	;; [unrolled: 1-line block ×6, first 2 shown]
	v_fma_f32 v148, 0xbe8c1d8e, v47, -v148
	v_add_f32_e32 v66, v191, v74
	v_add_f32_e32 v74, v193, v78
	;; [unrolled: 1-line block ×11, first 2 shown]
	v_fmac_f32_e32 v151, 0x3ee437d1, v46
	v_add_f32_e32 v32, v32, v59
	v_fma_f32 v51, 0x3ee437d1, v47, -v152
	v_add_f32_e32 v45, v45, v62
	v_fma_f32 v53, 0xbf59a7d5, v46, -v50
	v_fmamk_f32 v55, v47, 0xbf59a7d5, v52
	v_fmac_f32_e32 v50, 0xbf59a7d5, v46
	v_fma_f32 v52, 0xbf59a7d5, v47, -v52
	v_fma_f32 v57, 0xbf1a4643, v46, -v56
	v_fmamk_f32 v59, v47, 0xbf1a4643, v58
	v_fmac_f32_e32 v56, 0xbf1a4643, v46
	v_fma_f32 v58, 0xbf1a4643, v47, -v58
	v_fma_f32 v60, 0x3f3d2fb0, v46, -v49
	v_fmamk_f32 v61, v47, 0x3f3d2fb0, v48
	v_mul_f32_e32 v62, 0xbf763a35, v44
	v_fmac_f32_e32 v49, 0x3f3d2fb0, v46
	v_fma_f32 v46, 0x3f3d2fb0, v47, -v48
	v_mul_f32_e32 v47, 0xbf763a35, v43
	v_add_f32_e32 v26, v194, v26
	v_add_f32_e32 v48, v61, v74
	v_fma_f32 v61, 0xbe8c1d8e, v22, -v62
	v_add_f32_e32 v20, v49, v20
	v_add_f32_e32 v21, v46, v21
	v_fmamk_f32 v46, v42, 0xbe8c1d8e, v47
	v_mul_f32_e32 v49, 0x3f06c442, v44
	v_add_f32_e32 v63, v129, v67
	v_add_f32_e32 v25, v61, v25
	v_fma_f32 v47, 0xbe8c1d8e, v42, -v47
	v_add_f32_e32 v26, v46, v26
	v_fma_f32 v46, 0xbf59a7d5, v22, -v49
	v_mul_f32_e32 v61, 0x3f06c442, v43
	v_add_f32_e32 v14, v148, v54
	v_add_f32_e32 v54, v151, v63
	v_fmac_f32_e32 v62, 0xbe8c1d8e, v22
	v_add_f32_e32 v24, v47, v24
	v_mul_f32_e32 v47, 0x3f2c7751, v44
	v_add_f32_e32 v27, v46, v27
	v_fmamk_f32 v46, v42, 0xbf59a7d5, v61
	v_fmac_f32_e32 v49, 0xbf59a7d5, v22
	v_mul_f32_e32 v63, 0x3f2c7751, v43
	v_add_f32_e32 v23, v62, v23
	v_fma_f32 v61, 0xbf59a7d5, v42, -v61
	v_fma_f32 v62, 0x3f3d2fb0, v22, -v47
	v_add_f32_e32 v18, v46, v18
	v_add_f32_e32 v19, v49, v19
	v_fmamk_f32 v46, v42, 0x3f3d2fb0, v63
	v_mul_f32_e32 v49, 0xbf65296c, v44
	v_add_f32_e32 v28, v61, v28
	v_add_f32_e32 v16, v62, v16
	v_fmac_f32_e32 v47, 0x3f3d2fb0, v22
	v_fma_f32 v61, 0x3f3d2fb0, v42, -v63
	v_mul_f32_e32 v62, 0xbf65296c, v43
	v_add_f32_e32 v17, v46, v17
	v_fma_f32 v46, 0x3ee437d1, v22, -v49
	v_add_f32_e32 v68, v87, v71
	v_add_f32_e32 v71, v170, v156
	;; [unrolled: 1-line block ×4, first 2 shown]
	v_fmamk_f32 v47, v42, 0x3ee437d1, v62
	v_mul_f32_e32 v61, 0xbe3c28d5, v44
	v_add_f32_e32 v15, v46, v15
	v_fma_f32 v46, 0x3ee437d1, v42, -v62
	v_add_f32_e32 v69, v79, v69
	v_add_f32_e32 v64, v140, v68
	;; [unrolled: 1-line block ×3, first 2 shown]
	v_fmac_f32_e32 v49, 0x3ee437d1, v22
	v_add_f32_e32 v30, v47, v30
	v_fma_f32 v47, 0xbf7ba420, v22, -v61
	v_mul_f32_e32 v62, 0xbe3c28d5, v43
	v_add_f32_e32 v33, v46, v33
	v_mul_f32_e32 v46, 0x3f7ee86f, v44
	v_add_f32_e32 v75, v171, v157
	v_add_f32_e32 v76, v178, v162
	;; [unrolled: 1-line block ×8, first 2 shown]
	v_fmamk_f32 v47, v42, 0xbf7ba420, v62
	v_fmac_f32_e32 v61, 0xbf7ba420, v22
	v_fma_f32 v49, 0xbf7ba420, v42, -v62
	v_fma_f32 v62, 0x3dbcf732, v22, -v46
	v_mul_f32_e32 v63, 0x3f7ee86f, v43
	v_add_f32_e32 v72, v123, v72
	v_add_f32_e32 v73, v124, v73
	;; [unrolled: 1-line block ×12, first 2 shown]
	v_fmamk_f32 v53, v42, 0x3dbcf732, v63
	v_mul_f32_e32 v54, 0xbeb8f4ab, v44
	v_fmac_f32_e32 v46, 0x3dbcf732, v22
	v_mul_f32_e32 v61, 0xbeb8f4ab, v43
	v_add_f32_e32 v68, v141, v72
	v_add_f32_e32 v72, v142, v73
	;; [unrolled: 1-line block ×7, first 2 shown]
	v_fma_f32 v55, 0x3f6eb680, v22, -v54
	v_add_f32_e32 v46, v46, v50
	v_fmamk_f32 v50, v42, 0x3f6eb680, v61
	v_mul_f32_e32 v44, 0xbf4c4adb, v44
	v_fmac_f32_e32 v54, 0x3f6eb680, v22
	v_add_f32_e32 v58, v58, v72
	v_add_f32_e32 v60, v60, v73
	;; [unrolled: 1-line block ×4, first 2 shown]
	v_fma_f32 v57, 0x3f6eb680, v42, -v61
	v_fma_f32 v59, 0xbf1a4643, v22, -v44
	v_add_f32_e32 v54, v54, v56
	v_sub_f32_e32 v56, v5, v11
	v_mul_f32_e32 v43, 0xbf4c4adb, v43
	v_add_f32_e32 v57, v57, v58
	v_add_f32_e32 v58, v59, v60
	;; [unrolled: 1-line block ×3, first 2 shown]
	v_mul_f32_e32 v61, 0xbf4c4adb, v56
	v_sub_f32_e32 v4, v4, v10
	v_fmac_f32_e32 v44, 0xbf1a4643, v22
	v_fma_f32 v10, 0xbf1a4643, v42, -v43
	v_add_f32_e32 v5, v11, v5
	v_fma_f32 v11, 0xbf1a4643, v60, -v61
	v_mul_f32_e32 v22, 0xbf4c4adb, v4
	v_fmamk_f32 v59, v42, 0xbf1a4643, v43
	v_add_f32_e32 v10, v10, v21
	v_mul_f32_e32 v43, 0x3f763a35, v4
	v_add_f32_e32 v11, v11, v25
	v_fmamk_f32 v21, v5, 0xbf1a4643, v22
	v_mul_f32_e32 v25, 0x3f763a35, v56
	v_fma_f32 v22, 0xbf1a4643, v5, -v22
	v_add_f32_e32 v20, v44, v20
	v_mul_f32_e32 v44, 0xbeb8f4ab, v56
	v_add_f32_e32 v21, v21, v26
	v_fma_f32 v26, 0xbe8c1d8e, v60, -v25
	v_add_f32_e32 v22, v22, v24
	v_fmamk_f32 v24, v5, 0xbe8c1d8e, v43
	v_fmac_f32_e32 v25, 0xbe8c1d8e, v60
	v_fma_f32 v62, 0x3dbcf732, v42, -v63
	v_add_f32_e32 v26, v26, v27
	v_fma_f32 v27, 0xbe8c1d8e, v5, -v43
	v_add_f32_e32 v18, v24, v18
	v_fma_f32 v24, 0x3f6eb680, v60, -v44
	v_mul_f32_e32 v43, 0xbeb8f4ab, v4
	v_add_f32_e32 v19, v25, v19
	v_add_f32_e32 v25, v27, v28
	v_mul_f32_e32 v27, 0xbf06c442, v56
	v_add_f32_e32 v42, v59, v48
	v_add_f32_e32 v16, v24, v16
	v_fmamk_f32 v24, v5, 0x3f6eb680, v43
	v_fmac_f32_e32 v44, 0x3f6eb680, v60
	v_fma_f32 v28, 0x3f6eb680, v5, -v43
	v_fma_f32 v43, 0xbf59a7d5, v60, -v27
	v_mul_f32_e32 v48, 0xbf06c442, v4
	v_add_f32_e32 v17, v24, v17
	v_add_f32_e32 v24, v44, v29
	;; [unrolled: 1-line block ×4, first 2 shown]
	v_fmamk_f32 v28, v5, 0xbf59a7d5, v48
	v_mul_f32_e32 v29, 0x3f7ee86f, v56
	v_fmac_f32_e32 v27, 0xbf59a7d5, v60
	v_fma_f32 v43, 0xbf59a7d5, v5, -v48
	v_mul_f32_e32 v44, 0x3f7ee86f, v4
	v_add_f32_e32 v28, v28, v30
	v_fma_f32 v30, 0x3dbcf732, v60, -v29
	v_add_f32_e32 v27, v27, v31
	v_add_f32_e32 v31, v43, v33
	v_fmamk_f32 v33, v5, 0x3dbcf732, v44
	v_mul_f32_e32 v43, 0xbf2c7751, v56
	v_add_f32_e32 v30, v30, v32
	v_fmac_f32_e32 v29, 0x3dbcf732, v60
	v_fma_f32 v32, 0x3dbcf732, v5, -v44
	v_add_f32_e32 v33, v33, v45
	v_fma_f32 v44, 0x3f3d2fb0, v60, -v43
	v_mul_f32_e32 v45, 0xbf2c7751, v4
	v_add_f32_e32 v52, v52, v68
	v_add_f32_e32 v29, v29, v47
	v_mul_f32_e32 v47, 0xbe3c28d5, v56
	v_add_f32_e32 v44, v44, v51
	v_fmamk_f32 v48, v5, 0x3f3d2fb0, v45
	v_mul_f32_e32 v51, 0xbe3c28d5, v4
	v_mul_f32_e32 v4, 0x3f65296c, v4
	v_add_f32_e32 v52, v62, v52
	v_add_f32_e32 v32, v32, v49
	v_fmac_f32_e32 v43, 0x3f3d2fb0, v60
	v_fma_f32 v45, 0x3f3d2fb0, v5, -v45
	v_fma_f32 v49, 0xbf7ba420, v60, -v47
	v_add_f32_e32 v48, v48, v53
	v_fmac_f32_e32 v47, 0xbf7ba420, v60
	v_fmamk_f32 v53, v5, 0x3ee437d1, v4
	v_add_f32_e32 v43, v43, v46
	v_add_f32_e32 v45, v45, v52
	;; [unrolled: 1-line block ×3, first 2 shown]
	v_fmamk_f32 v49, v5, 0xbf7ba420, v51
	v_mul_f32_e32 v52, 0x3f65296c, v56
	v_add_f32_e32 v47, v47, v54
	v_sub_f32_e32 v54, v7, v9
	v_add_f32_e32 v42, v53, v42
	v_add_f32_e32 v53, v8, v6
	v_sub_f32_e32 v6, v6, v8
	v_fma_f32 v51, 0xbf7ba420, v5, -v51
	v_add_f32_e32 v49, v49, v50
	v_fma_f32 v50, 0x3ee437d1, v60, -v52
	v_mul_f32_e32 v8, 0xbf06c442, v54
	v_fmac_f32_e32 v52, 0x3ee437d1, v60
	v_fma_f32 v4, 0x3ee437d1, v5, -v4
	v_add_f32_e32 v5, v9, v7
	v_mul_f32_e32 v7, 0xbf06c442, v6
	v_fmac_f32_e32 v61, 0xbf1a4643, v60
	v_fma_f32 v9, 0xbf59a7d5, v53, -v8
	v_add_f32_e32 v20, v52, v20
	v_add_f32_e32 v4, v4, v10
	v_mul_f32_e32 v10, 0x3f65296c, v54
	v_fmamk_f32 v52, v5, 0xbf59a7d5, v7
	v_add_f32_e32 v23, v61, v23
	v_add_f32_e32 v9, v9, v11
	v_fmac_f32_e32 v8, 0xbf59a7d5, v53
	v_fma_f32 v7, 0xbf59a7d5, v5, -v7
	v_fma_f32 v11, 0x3ee437d1, v53, -v10
	v_add_f32_e32 v21, v52, v21
	v_mul_f32_e32 v52, 0x3f65296c, v6
	v_add_f32_e32 v8, v8, v23
	v_add_f32_e32 v7, v7, v22
	;; [unrolled: 1-line block ×3, first 2 shown]
	v_mul_f32_e32 v22, 0xbf7ee86f, v54
	v_fmamk_f32 v23, v5, 0x3ee437d1, v52
	v_fmac_f32_e32 v10, 0x3ee437d1, v53
	v_fma_f32 v26, 0x3ee437d1, v5, -v52
	v_mul_f32_e32 v52, 0xbf7ee86f, v6
	v_fma_f32 v55, 0x3dbcf732, v53, -v22
	v_add_f32_e32 v18, v23, v18
	v_add_f32_e32 v10, v10, v19
	;; [unrolled: 1-line block ×3, first 2 shown]
	v_fmamk_f32 v23, v5, 0x3dbcf732, v52
	v_mul_f32_e32 v25, 0x3f4c4adb, v54
	v_fmac_f32_e32 v22, 0x3dbcf732, v53
	v_fma_f32 v26, 0x3dbcf732, v5, -v52
	v_add_f32_e32 v16, v55, v16
	v_add_f32_e32 v17, v23, v17
	v_mul_f32_e32 v23, 0x3f4c4adb, v6
	v_fma_f32 v52, 0xbf1a4643, v53, -v25
	v_add_f32_e32 v22, v22, v24
	v_mul_f32_e32 v24, 0xbeb8f4ab, v54
	v_add_f32_e32 v14, v26, v14
	v_fmamk_f32 v26, v5, 0xbf1a4643, v23
	v_add_f32_e32 v15, v52, v15
	v_fmac_f32_e32 v25, 0xbf1a4643, v53
	v_fma_f32 v52, 0x3f6eb680, v53, -v24
	v_fma_f32 v23, 0xbf1a4643, v5, -v23
	v_add_f32_e32 v26, v26, v28
	v_mul_f32_e32 v28, 0xbeb8f4ab, v6
	v_add_f32_e32 v25, v25, v27
	v_add_f32_e32 v27, v52, v30
	v_mul_f32_e32 v30, 0xbe3c28d5, v54
	v_fmac_f32_e32 v24, 0x3f6eb680, v53
	v_mul_f32_e32 v52, 0xbe3c28d5, v6
	v_add_f32_e32 v23, v23, v31
	v_fmamk_f32 v31, v5, 0x3f6eb680, v28
	v_fma_f32 v28, 0x3f6eb680, v5, -v28
	v_fma_f32 v55, 0xbf7ba420, v53, -v30
	v_add_f32_e32 v24, v24, v29
	v_fmamk_f32 v29, v5, 0xbf7ba420, v52
	v_add_f32_e32 v31, v31, v33
	v_add_f32_e32 v28, v28, v32
	;; [unrolled: 1-line block ×3, first 2 shown]
	v_mul_f32_e32 v33, 0x3f2c7751, v54
	v_fmac_f32_e32 v30, 0xbf7ba420, v53
	v_fma_f32 v44, 0xbf7ba420, v5, -v52
	v_add_f32_e32 v29, v29, v48
	v_mul_f32_e32 v48, 0x3f2c7751, v6
	v_add_f32_e32 v51, v51, v57
	v_fma_f32 v52, 0x3f3d2fb0, v53, -v33
	v_add_f32_e32 v30, v30, v43
	v_add_f32_e32 v43, v44, v45
	v_mul_f32_e32 v44, 0xbf763a35, v54
	v_fmamk_f32 v45, v5, 0x3f3d2fb0, v48
	v_fmac_f32_e32 v33, 0x3f3d2fb0, v53
	v_fma_f32 v48, 0x3f3d2fb0, v5, -v48
	v_add_f32_e32 v50, v50, v58
	v_add_f32_e32 v46, v52, v46
	v_fma_f32 v52, 0xbe8c1d8e, v53, -v44
	v_add_f32_e32 v45, v45, v49
	v_mul_f32_e32 v6, 0xbf763a35, v6
	v_add_f32_e32 v33, v33, v47
	v_add_f32_e32 v47, v48, v51
	v_sub_f32_e32 v49, v1, v3
	v_sub_f32_e32 v51, v0, v2
	v_add_f32_e32 v48, v52, v50
	v_fmamk_f32 v50, v5, 0xbe8c1d8e, v6
	v_fmac_f32_e32 v44, 0xbe8c1d8e, v53
	v_add_f32_e32 v52, v2, v0
	v_mul_f32_e32 v2, 0xbe3c28d5, v49
	v_fma_f32 v0, 0xbe8c1d8e, v5, -v6
	v_add_f32_e32 v53, v3, v1
	v_mul_f32_e32 v1, 0xbe3c28d5, v51
	v_add_f32_e32 v42, v50, v42
	v_fma_f32 v3, 0xbf7ba420, v52, -v2
	v_add_f32_e32 v50, v0, v4
	v_mul_f32_e32 v6, 0x3eb8f4ab, v49
	v_fmamk_f32 v4, v53, 0xbf7ba420, v1
	v_add_f32_e32 v44, v44, v20
	v_add_f32_e32 v0, v3, v9
	v_fmac_f32_e32 v2, 0xbf7ba420, v52
	v_fma_f32 v3, 0xbf7ba420, v53, -v1
	v_add_f32_e32 v1, v4, v21
	v_fma_f32 v4, 0x3f6eb680, v52, -v6
	v_mul_f32_e32 v5, 0x3eb8f4ab, v51
	v_mul_f32_e32 v20, 0xbf06c442, v49
	v_add_f32_e32 v2, v2, v8
	v_add_f32_e32 v3, v3, v7
	v_add_f32_e32 v4, v4, v11
	v_fmamk_f32 v7, v53, 0x3f6eb680, v5
	v_fma_f32 v8, 0x3f6eb680, v53, -v5
	v_fma_f32 v9, 0xbf59a7d5, v52, -v20
	v_mul_f32_e32 v11, 0xbf06c442, v51
	v_fmac_f32_e32 v6, 0x3f6eb680, v52
	v_add_f32_e32 v5, v7, v18
	v_add_f32_e32 v7, v8, v19
	;; [unrolled: 1-line block ×3, first 2 shown]
	v_fmamk_f32 v9, v53, 0xbf59a7d5, v11
	v_mul_f32_e32 v16, 0x3f2c7751, v49
	v_mul_f32_e32 v18, 0x3f2c7751, v51
	v_fma_f32 v11, 0xbf59a7d5, v53, -v11
	v_fmac_f32_e32 v20, 0xbf59a7d5, v52
	v_add_f32_e32 v9, v9, v17
	v_fma_f32 v17, 0x3f3d2fb0, v52, -v16
	v_fmamk_f32 v19, v53, 0x3f3d2fb0, v18
	v_fmac_f32_e32 v16, 0x3f3d2fb0, v52
	v_add_f32_e32 v11, v11, v14
	v_add_f32_e32 v6, v6, v10
	;; [unrolled: 1-line block ×3, first 2 shown]
	v_fma_f32 v17, 0x3f3d2fb0, v53, -v18
	v_add_f32_e32 v15, v19, v26
	v_mul_f32_e32 v19, 0xbf4c4adb, v51
	v_add_f32_e32 v16, v16, v25
	v_mul_f32_e32 v25, 0x3f65296c, v49
	v_add_f32_e32 v10, v20, v22
	v_mul_f32_e32 v20, 0xbf4c4adb, v49
	v_add_f32_e32 v17, v17, v23
	v_fmamk_f32 v21, v53, 0xbf1a4643, v19
	v_fma_f32 v22, 0xbf1a4643, v53, -v19
	v_fma_f32 v23, 0x3ee437d1, v52, -v25
	v_mul_f32_e32 v26, 0x3f65296c, v51
	v_fma_f32 v18, 0xbf1a4643, v52, -v20
	v_add_f32_e32 v19, v21, v31
	v_add_f32_e32 v21, v22, v28
	;; [unrolled: 1-line block ×3, first 2 shown]
	v_fmamk_f32 v23, v53, 0x3ee437d1, v26
	v_mul_f32_e32 v28, 0xbf763a35, v49
	v_mul_f32_e32 v31, 0xbf763a35, v51
	v_add_f32_e32 v18, v18, v27
	v_fmac_f32_e32 v20, 0xbf1a4643, v52
	v_fmac_f32_e32 v25, 0x3ee437d1, v52
	v_fma_f32 v26, 0x3ee437d1, v53, -v26
	v_add_f32_e32 v23, v23, v29
	v_fma_f32 v27, 0xbe8c1d8e, v52, -v28
	v_fmamk_f32 v29, v53, 0xbe8c1d8e, v31
	v_add_f32_e32 v20, v20, v24
	v_add_f32_e32 v24, v25, v30
	;; [unrolled: 1-line block ×5, first 2 shown]
	v_fma_f32 v29, 0xbe8c1d8e, v53, -v31
	v_and_b32_e32 v31, 0xff, v34
	v_fmac_f32_e32 v28, 0xbe8c1d8e, v52
	v_mul_f32_e32 v43, 0x3f7ee86f, v51
	v_mul_f32_e32 v32, 0x3f7ee86f, v49
	v_mul_lo_u16 v45, v34, 17
	v_mul_lo_u16 v31, 0xf1, v31
	v_add_f32_e32 v28, v28, v33
	v_fmamk_f32 v33, v53, 0x3dbcf732, v43
	v_fma_f32 v30, 0x3dbcf732, v52, -v32
	v_fmac_f32_e32 v32, 0x3dbcf732, v52
	v_lshrrev_b16 v58, 12, v31
	v_fma_f32 v43, 0x3dbcf732, v53, -v43
	v_add_f32_e32 v31, v33, v42
	v_mov_b32_e32 v46, 3
	v_add_f32_e32 v30, v30, v48
	v_mul_lo_u16 v42, v58, 17
	v_add_f32_e32 v32, v32, v44
	v_add_f32_e32 v33, v43, v50
	v_lshlrev_b32_sdwa v140, v46, v45 dst_sel:DWORD dst_unused:UNUSED_PAD src0_sel:DWORD src1_sel:WORD_0
	v_add_f32_e32 v29, v29, v47
	v_sub_nc_u16 v42, v34, v42
	ds_write2_b64 v140, v[12:13], v[0:1] offset1:1
	ds_write2_b64 v140, v[4:5], v[8:9] offset0:2 offset1:3
	ds_write2_b64 v140, v[14:15], v[18:19] offset0:4 offset1:5
	;; [unrolled: 1-line block ×7, first 2 shown]
	v_and_b32_e32 v59, 0xff, v42
	ds_write_b64 v140, v[2:3] offset:128
	s_waitcnt lgkmcnt(0)
	s_barrier
	buffer_gl0_inv
	v_lshlrev_b32_e32 v24, 7, v59
	s_clause 0x7
	global_load_dwordx4 v[28:31], v24, s[2:3]
	global_load_dwordx4 v[20:23], v24, s[2:3] offset:16
	global_load_dwordx4 v[16:19], v24, s[2:3] offset:32
	global_load_dwordx4 v[0:3], v24, s[2:3] offset:48
	global_load_dwordx4 v[12:15], v24, s[2:3] offset:64
	global_load_dwordx4 v[8:11], v24, s[2:3] offset:80
	global_load_dwordx4 v[4:7], v24, s[2:3] offset:96
	global_load_dwordx4 v[24:27], v24, s[2:3] offset:112
	ds_read2_b64 v[41:44], v41 offset0:76 offset1:178
	ds_read2_b64 v[45:48], v35 offset0:152 offset1:254
	;; [unrolled: 1-line block ×5, first 2 shown]
	s_waitcnt vmcnt(7) lgkmcnt(4)
	v_mul_f32_e32 v32, v42, v31
	s_waitcnt vmcnt(6)
	v_mul_f32_e32 v33, v44, v21
	v_mul_f32_e32 v53, v41, v31
	;; [unrolled: 1-line block ×3, first 2 shown]
	s_waitcnt lgkmcnt(3)
	v_mul_f32_e32 v52, v45, v23
	v_fma_f32 v54, v41, v30, -v32
	v_mul_f32_e32 v32, v46, v23
	v_fma_f32 v144, v43, v20, -v33
	s_waitcnt vmcnt(5)
	v_mul_f32_e32 v33, v48, v17
	v_fmac_f32_e32 v53, v42, v30
	ds_read2_b64 v[39:42], v39 offset0:72 offset1:174
	v_fma_f32 v55, v45, v22, -v32
	s_waitcnt lgkmcnt(3)
	v_mul_f32_e32 v32, v61, v19
	v_fma_f32 v64, v47, v16, -v33
	s_waitcnt vmcnt(4)
	v_mul_f32_e32 v33, v63, v1
	v_mul_f32_e32 v65, v47, v17
	v_fmac_f32_e32 v145, v44, v20
	v_fma_f32 v71, v60, v18, -v32
	s_waitcnt lgkmcnt(2)
	v_mul_f32_e32 v32, v67, v3
	v_fmac_f32_e32 v52, v46, v22
	v_fma_f32 v78, v62, v0, -v33
	ds_read2_b64 v[44:47], v135 offset1:102
	v_fmac_f32_e32 v65, v48, v16
	v_fma_f32 v87, v66, v2, -v32
	ds_read_b64 v[32:33], v135 offset:13056
	ds_read2_b64 v[48:51], v38 offset0:148 offset1:250
	s_waitcnt vmcnt(3)
	v_mul_f32_e32 v43, v69, v13
	v_mul_f32_e32 v70, v60, v19
	;; [unrolled: 1-line block ×3, first 2 shown]
	s_waitcnt vmcnt(2) lgkmcnt(4)
	v_mul_f32_e32 v56, v75, v9
	s_waitcnt lgkmcnt(3)
	v_mul_f32_e32 v38, v40, v11
	v_fma_f32 v126, v68, v12, -v43
	v_mul_f32_e32 v43, v73, v15
	v_mul_f32_e32 v76, v39, v11
	v_fmac_f32_e32 v70, v61, v18
	v_fma_f32 v77, v39, v10, -v38
	v_fmac_f32_e32 v125, v69, v12
	v_fma_f32 v133, v72, v14, -v43
	s_waitcnt vmcnt(1)
	v_mul_f32_e32 v43, v42, v5
	v_fmac_f32_e32 v76, v40, v10
	v_mul_f32_e32 v131, v72, v15
	s_waitcnt lgkmcnt(2)
	v_mul_f32_e32 v38, v46, v29
	v_fma_f32 v124, v74, v8, -v56
	v_mul_f32_e32 v68, v41, v5
	s_waitcnt vmcnt(0) lgkmcnt(1)
	v_mul_f32_e32 v127, v32, v27
	v_mul_f32_e32 v39, v33, v27
	v_fmac_f32_e32 v38, v47, v28
	s_waitcnt lgkmcnt(0)
	v_mul_f32_e32 v40, v49, v7
	v_fma_f32 v69, v41, v4, -v43
	v_fmac_f32_e32 v127, v33, v26
	v_mul_f32_e32 v33, v47, v29
	v_fma_f32 v130, v32, v26, -v39
	v_mul_f32_e32 v39, v51, v25
	v_mul_f32_e32 v60, v48, v7
	v_fma_f32 v61, v48, v6, -v40
	v_fma_f32 v32, v46, v28, -v33
	v_sub_f32_e32 v33, v38, v127
	v_fma_f32 v147, v50, v24, -v39
	v_mul_f32_e32 v79, v62, v1
	v_mul_f32_e32 v86, v66, v3
	;; [unrolled: 1-line block ×11, first 2 shown]
	v_sub_f32_e32 v33, v32, v130
	v_fmac_f32_e32 v131, v73, v14
	v_add_f32_e32 v62, v38, v127
	v_add_f32_e32 v38, v45, v38
	v_fmac_f32_e32 v79, v63, v0
	v_mul_f32_e32 v73, 0xbf7ee86f, v33
	v_mul_f32_e32 v74, 0xbf763a35, v33
	v_fmac_f32_e32 v86, v67, v2
	v_add_f32_e32 v40, v32, v130
	v_mul_f32_e32 v63, 0xbeb8f4ab, v33
	v_mul_f32_e32 v66, 0xbf2c7751, v33
	;; [unrolled: 1-line block ×3, first 2 shown]
	v_fmamk_f32 v150, v62, 0x3dbcf732, v73
	v_fma_f32 v151, 0x3dbcf732, v62, -v73
	v_fmamk_f32 v152, v62, 0xbe8c1d8e, v74
	v_mul_f32_e32 v73, 0xbf4c4adb, v33
	v_fma_f32 v153, 0xbe8c1d8e, v62, -v74
	v_mul_f32_e32 v74, 0xbf06c442, v33
	v_add_f32_e32 v32, v44, v32
	v_mul_f32_e32 v33, 0xbe3c28d5, v33
	v_add_f32_e32 v38, v38, v53
	v_fma_f32 v46, 0x3f3d2fb0, v40, -v39
	v_fmac_f32_e32 v39, 0x3f3d2fb0, v40
	v_add_f32_e32 v32, v32, v54
	v_fmamk_f32 v158, v62, 0xbf7ba420, v33
	v_fma_f32 v159, 0xbf7ba420, v62, -v33
	v_add_f32_e32 v33, v38, v145
	v_add_f32_e32 v83, v44, v39
	;; [unrolled: 1-line block ×3, first 2 shown]
	v_fmac_f32_e32 v123, v75, v8
	v_mul_f32_e32 v146, v50, v25
	v_add_f32_e32 v33, v33, v52
	v_fmac_f32_e32 v68, v42, v4
	v_add_f32_e32 v32, v32, v55
	v_fma_f32 v50, 0x3dbcf732, v40, -v47
	v_fmac_f32_e32 v146, v51, v24
	v_add_f32_e32 v33, v33, v65
	v_fmac_f32_e32 v47, 0x3dbcf732, v40
	v_add_f32_e32 v32, v32, v64
	v_fmac_f32_e32 v60, v49, v6
	v_fma_f32 v42, 0x3f6eb680, v40, -v41
	v_add_f32_e32 v33, v33, v70
	v_fmac_f32_e32 v41, 0x3f6eb680, v40
	v_add_f32_e32 v32, v32, v71
	v_fma_f32 v49, 0x3ee437d1, v40, -v43
	v_fmac_f32_e32 v43, 0x3ee437d1, v40
	v_add_f32_e32 v33, v33, v79
	v_fma_f32 v51, 0xbe8c1d8e, v40, -v48
	v_add_f32_e32 v32, v32, v78
	v_fmac_f32_e32 v48, 0xbe8c1d8e, v40
	v_fma_f32 v57, 0xbf1a4643, v40, -v56
	v_add_f32_e32 v33, v33, v86
	v_fmac_f32_e32 v56, 0xbf1a4643, v40
	v_add_f32_e32 v32, v32, v87
	v_fma_f32 v148, 0xbf59a7d5, v40, -v132
	v_fmac_f32_e32 v132, 0xbf59a7d5, v40
	v_add_f32_e32 v39, v33, v125
	v_fma_f32 v149, 0xbf7ba420, v40, -v134
	v_add_f32_e32 v38, v32, v126
	v_fmac_f32_e32 v134, 0xbf7ba420, v40
	v_fmamk_f32 v40, v62, 0x3f6eb680, v63
	v_add_f32_e32 v39, v39, v131
	v_fma_f32 v63, 0x3f6eb680, v62, -v63
	v_add_f32_e32 v38, v38, v133
	v_fmamk_f32 v72, v62, 0x3f3d2fb0, v66
	v_fma_f32 v66, 0x3f3d2fb0, v62, -v66
	v_add_f32_e32 v39, v39, v123
	v_fmamk_f32 v75, v62, 0x3ee437d1, v67
	v_add_f32_e32 v38, v38, v124
	v_fma_f32 v67, 0x3ee437d1, v62, -v67
	v_fmamk_f32 v154, v62, 0xbf1a4643, v73
	v_add_f32_e32 v39, v39, v76
	v_fma_f32 v155, 0xbf1a4643, v62, -v73
	v_fmamk_f32 v156, v62, 0xbf59a7d5, v74
	v_fma_f32 v157, 0xbf59a7d5, v62, -v74
	v_add_f32_e32 v73, v44, v47
	v_add_f32_e32 v38, v38, v77
	;; [unrolled: 1-line block ×3, first 2 shown]
	v_sub_f32_e32 v47, v53, v146
	v_add_f32_e32 v160, v44, v42
	v_add_f32_e32 v161, v45, v40
	;; [unrolled: 1-line block ×25, first 2 shown]
	v_sub_f32_e32 v46, v54, v147
	v_add_f32_e32 v45, v39, v60
	v_add_f32_e32 v39, v54, v147
	v_mul_f32_e32 v132, 0xbf2c7751, v47
	v_add_f32_e32 v129, v44, v41
	v_add_f32_e32 v85, v44, v43
	;; [unrolled: 1-line block ×8, first 2 shown]
	v_mul_f32_e32 v134, 0xbf2c7751, v46
	v_add_f32_e32 v148, v45, v146
	v_sub_f32_e32 v54, v145, v60
	v_fma_f32 v45, 0x3f3d2fb0, v39, -v132
	v_sub_f32_e32 v53, v144, v61
	v_add_f32_e32 v149, v44, v147
	v_fmamk_f32 v146, v38, 0x3f3d2fb0, v134
	v_add_f32_e32 v44, v144, v61
	v_mul_f32_e32 v144, 0xbf65296c, v54
	v_add_f32_e32 v150, v45, v160
	v_add_f32_e32 v45, v145, v60
	v_mul_f32_e32 v145, 0xbf65296c, v53
	v_sub_f32_e32 v61, v52, v68
	v_add_f32_e32 v151, v146, v161
	v_fma_f32 v152, 0x3ee437d1, v44, -v144
	v_sub_f32_e32 v60, v55, v69
	v_fmamk_f32 v153, v45, 0x3ee437d1, v145
	v_add_f32_e32 v55, v55, v69
	v_mul_f32_e32 v146, 0xbf7ee86f, v61
	v_add_f32_e32 v52, v52, v68
	v_mul_f32_e32 v147, 0xbf7ee86f, v60
	v_add_f32_e32 v152, v152, v150
	v_add_f32_e32 v153, v153, v151
	v_sub_f32_e32 v69, v65, v76
	v_fma_f32 v151, 0x3dbcf732, v55, -v146
	v_sub_f32_e32 v68, v64, v77
	v_fmamk_f32 v154, v52, 0x3dbcf732, v147
	v_add_f32_e32 v64, v64, v77
	v_mul_f32_e32 v150, 0xbf763a35, v69
	v_add_f32_e32 v152, v151, v152
	v_add_f32_e32 v65, v65, v76
	v_mul_f32_e32 v151, 0xbf763a35, v68
	v_sub_f32_e32 v77, v70, v123
	v_sub_f32_e32 v76, v71, v124
	v_add_f32_e32 v153, v154, v153
	v_fma_f32 v154, 0xbe8c1d8e, v64, -v150
	v_fmamk_f32 v155, v65, 0xbe8c1d8e, v151
	v_add_f32_e32 v70, v70, v123
	v_add_f32_e32 v71, v71, v124
	v_mul_f32_e32 v156, 0xbf4c4adb, v77
	v_mul_f32_e32 v157, 0xbf4c4adb, v76
	v_sub_f32_e32 v124, v79, v131
	v_add_f32_e32 v152, v154, v152
	v_add_f32_e32 v153, v155, v153
	v_fma_f32 v154, 0xbf1a4643, v71, -v156
	v_fmamk_f32 v155, v70, 0xbf1a4643, v157
	v_sub_f32_e32 v123, v78, v133
	v_add_f32_e32 v78, v78, v133
	v_mul_f32_e32 v158, 0xbf06c442, v124
	v_sub_f32_e32 v133, v86, v125
	v_add_f32_e32 v152, v154, v152
	v_add_f32_e32 v79, v79, v131
	v_mul_f32_e32 v154, 0xbf06c442, v123
	v_add_f32_e32 v153, v155, v153
	v_fma_f32 v155, 0xbf59a7d5, v78, -v158
	v_sub_f32_e32 v131, v87, v126
	v_add_f32_e32 v126, v87, v126
	v_mul_f32_e32 v160, 0xbe3c28d5, v133
	v_fmamk_f32 v159, v79, 0xbf59a7d5, v154
	v_add_f32_e32 v125, v86, v125
	v_mul_f32_e32 v161, 0xbe3c28d5, v131
	v_add_f32_e32 v86, v149, v130
	v_add_f32_e32 v130, v155, v152
	v_fma_f32 v152, 0xbf7ba420, v126, -v160
	v_add_f32_e32 v87, v148, v127
	v_mul_f32_e32 v127, 0xbf7ee86f, v47
	v_add_f32_e32 v149, v159, v153
	v_fmamk_f32 v153, v125, 0xbf7ba420, v161
	v_mul_f32_e32 v155, 0xbf7ee86f, v46
	v_add_f32_e32 v148, v152, v130
	v_mov_b32_e32 v130, 0x121
	v_fma_f32 v152, 0x3dbcf732, v39, -v127
	v_mul_f32_e32 v159, 0xbf4c4adb, v54
	v_add_f32_e32 v149, v153, v149
	v_fmamk_f32 v153, v38, 0x3dbcf732, v155
	v_mul_f32_e32 v162, 0xbf4c4adb, v53
	v_mul_u32_u24_sdwa v58, v58, v130 dst_sel:DWORD dst_unused:UNUSED_PAD src0_sel:WORD_0 src1_sel:DWORD
	v_add_f32_e32 v130, v152, v139
	v_fma_f32 v152, 0xbf1a4643, v44, -v159
	v_mul_f32_e32 v163, 0xbe3c28d5, v61
	v_add_f32_e32 v143, v153, v143
	v_fmamk_f32 v153, v45, 0xbf1a4643, v162
	v_mul_f32_e32 v164, 0xbe3c28d5, v60
	v_add_lshl_u32 v139, v58, v59, 3
	v_add_f32_e32 v58, v152, v130
	v_fma_f32 v130, 0xbf7ba420, v55, -v163
	v_mul_f32_e32 v152, 0x3f06c442, v69
	v_add_f32_e32 v59, v153, v143
	v_fmamk_f32 v143, v52, 0xbf7ba420, v164
	v_mul_f32_e32 v153, 0x3f06c442, v68
	v_add_f32_e32 v58, v130, v58
	v_fma_f32 v130, 0xbf59a7d5, v64, -v152
	v_mul_f32_e32 v165, 0x3f763a35, v77
	v_add_f32_e32 v59, v143, v59
	v_fmamk_f32 v143, v65, 0xbf59a7d5, v153
	v_mul_f32_e32 v166, 0x3f763a35, v76
	v_add_f32_e32 v58, v130, v58
	v_fma_f32 v130, 0xbe8c1d8e, v71, -v165
	v_mul_f32_e32 v167, 0x3f65296c, v124
	v_add_f32_e32 v59, v143, v59
	v_fmamk_f32 v143, v70, 0xbe8c1d8e, v166
	v_mul_f32_e32 v168, 0x3f65296c, v123
	v_add_f32_e32 v58, v130, v58
	v_fma_f32 v130, 0x3ee437d1, v78, -v167
	v_mul_f32_e32 v169, 0xbf4c4adb, v47
	s_barrier
	buffer_gl0_inv
	v_add_f32_e32 v59, v143, v59
	v_fmamk_f32 v143, v79, 0x3ee437d1, v168
	v_mul_f32_e32 v170, 0xbf4c4adb, v46
	ds_write2_b64 v139, v[86:87], v[148:149] offset1:17
	v_add_f32_e32 v58, v130, v58
	v_fma_f32 v86, 0xbf1a4643, v39, -v169
	v_mul_f32_e32 v130, 0x3e3c28d5, v54
	v_add_f32_e32 v59, v143, v59
	v_fmamk_f32 v87, v38, 0xbf1a4643, v170
	v_mul_f32_e32 v143, 0x3e3c28d5, v53
	v_mul_f32_e32 v148, 0x3eb8f4ab, v133
	v_add_f32_e32 v86, v86, v141
	v_fma_f32 v141, 0xbf7ba420, v44, -v130
	v_mul_f32_e32 v149, 0x3f763a35, v61
	v_add_f32_e32 v87, v87, v142
	v_fmamk_f32 v142, v45, 0xbf7ba420, v143
	v_mul_f32_e32 v171, 0x3f763a35, v60
	v_fma_f32 v172, 0x3f6eb680, v126, -v148
	v_add_f32_e32 v86, v141, v86
	v_fma_f32 v141, 0xbe8c1d8e, v55, -v149
	v_mul_f32_e32 v173, 0x3f2c7751, v69
	v_add_f32_e32 v87, v142, v87
	v_fmamk_f32 v142, v52, 0xbe8c1d8e, v171
	v_mul_f32_e32 v174, 0x3f2c7751, v68
	v_add_f32_e32 v58, v172, v58
	v_add_f32_e32 v86, v141, v86
	v_fma_f32 v141, 0x3f3d2fb0, v64, -v173
	v_mul_f32_e32 v172, 0xbeb8f4ab, v77
	v_add_f32_e32 v87, v142, v87
	v_fmamk_f32 v142, v65, 0x3f3d2fb0, v174
	v_mul_f32_e32 v175, 0xbeb8f4ab, v76
	v_add_f32_e32 v86, v141, v86
	v_fma_f32 v141, 0x3f6eb680, v71, -v172
	v_mul_f32_e32 v177, 0xbf7ee86f, v124
	v_add_f32_e32 v87, v142, v87
	v_fmamk_f32 v142, v70, 0x3f6eb680, v175
	v_mul_f32_e32 v178, 0xbf7ee86f, v123
	v_add_f32_e32 v86, v141, v86
	v_fma_f32 v141, 0x3dbcf732, v78, -v177
	v_fmac_f32_e32 v132, 0x3f3d2fb0, v39
	v_fma_f32 v134, 0x3f3d2fb0, v38, -v134
	v_mul_f32_e32 v176, 0x3eb8f4ab, v131
	v_add_f32_e32 v87, v142, v87
	v_fmamk_f32 v142, v79, 0x3dbcf732, v178
	v_add_f32_e32 v86, v141, v86
	v_add_f32_e32 v129, v132, v129
	v_fmac_f32_e32 v144, 0x3ee437d1, v44
	v_add_f32_e32 v128, v134, v128
	v_fma_f32 v132, 0x3ee437d1, v45, -v145
	v_mul_f32_e32 v134, 0xbf06c442, v133
	v_mul_f32_e32 v141, 0xbf06c442, v131
	v_fmamk_f32 v179, v125, 0x3f6eb680, v176
	v_add_f32_e32 v87, v142, v87
	v_add_f32_e32 v129, v144, v129
	v_fmac_f32_e32 v146, 0x3dbcf732, v55
	v_add_f32_e32 v128, v132, v128
	v_fma_f32 v132, 0x3dbcf732, v52, -v147
	v_fma_f32 v142, 0xbf59a7d5, v126, -v134
	v_fmamk_f32 v144, v125, 0xbf59a7d5, v141
	v_add_f32_e32 v59, v179, v59
	v_add_f32_e32 v129, v146, v129
	v_fmac_f32_e32 v150, 0xbe8c1d8e, v64
	v_add_f32_e32 v128, v132, v128
	v_fma_f32 v132, 0xbe8c1d8e, v65, -v151
	v_add_f32_e32 v86, v142, v86
	v_add_f32_e32 v87, v144, v87
	v_fmac_f32_e32 v127, 0x3dbcf732, v39
	v_add_f32_e32 v129, v150, v129
	v_fmac_f32_e32 v156, 0xbf1a4643, v71
	v_add_f32_e32 v128, v132, v128
	v_fma_f32 v132, 0xbf1a4643, v70, -v157
	ds_write2_b64 v139, v[58:59], v[86:87] offset0:34 offset1:51
	v_fma_f32 v86, 0x3dbcf732, v38, -v155
	v_add_f32_e32 v83, v127, v83
	v_fmac_f32_e32 v159, 0xbf1a4643, v44
	v_add_f32_e32 v58, v156, v129
	v_fmac_f32_e32 v158, 0xbf59a7d5, v78
	v_add_f32_e32 v59, v132, v128
	v_fma_f32 v87, 0xbf59a7d5, v79, -v154
	v_add_f32_e32 v82, v86, v82
	v_fma_f32 v86, 0xbf1a4643, v45, -v162
	v_add_f32_e32 v83, v159, v83
	v_fmac_f32_e32 v163, 0xbf7ba420, v55
	v_add_f32_e32 v58, v158, v58
	v_add_f32_e32 v59, v87, v59
	v_fmac_f32_e32 v160, 0xbf7ba420, v126
	v_add_f32_e32 v86, v86, v82
	v_fma_f32 v87, 0xbf7ba420, v52, -v164
	v_add_f32_e32 v83, v163, v83
	v_fmac_f32_e32 v152, 0xbf59a7d5, v64
	v_fma_f32 v127, 0xbf7ba420, v125, -v161
	v_add_f32_e32 v82, v160, v58
	v_add_f32_e32 v58, v87, v86
	v_fma_f32 v86, 0xbf59a7d5, v65, -v153
	v_add_f32_e32 v87, v152, v83
	v_fmac_f32_e32 v165, 0xbe8c1d8e, v71
	v_fmac_f32_e32 v169, 0xbf1a4643, v39
	v_add_f32_e32 v83, v127, v59
	v_add_f32_e32 v58, v86, v58
	v_fma_f32 v59, 0xbe8c1d8e, v70, -v166
	v_add_f32_e32 v86, v165, v87
	v_fma_f32 v87, 0xbf1a4643, v38, -v170
	v_add_f32_e32 v85, v169, v85
	v_fmac_f32_e32 v130, 0xbf7ba420, v44
	v_add_f32_e32 v58, v59, v58
	v_fmac_f32_e32 v149, 0xbe8c1d8e, v55
	v_add_f32_e32 v59, v87, v84
	v_fma_f32 v84, 0xbf7ba420, v45, -v143
	v_add_f32_e32 v85, v130, v85
	v_fmac_f32_e32 v167, 0x3ee437d1, v78
	v_fma_f32 v87, 0x3ee437d1, v79, -v168
	v_fmac_f32_e32 v173, 0x3f3d2fb0, v64
	v_add_f32_e32 v59, v84, v59
	v_fma_f32 v84, 0xbe8c1d8e, v52, -v171
	v_add_f32_e32 v85, v149, v85
	v_add_f32_e32 v86, v167, v86
	;; [unrolled: 1-line block ×3, first 2 shown]
	v_fmac_f32_e32 v148, 0x3f6eb680, v126
	v_add_f32_e32 v59, v84, v59
	v_fma_f32 v87, 0x3f3d2fb0, v65, -v174
	v_add_f32_e32 v85, v173, v85
	v_fmac_f32_e32 v172, 0x3f6eb680, v71
	v_fma_f32 v127, 0x3f6eb680, v125, -v176
	v_add_f32_e32 v84, v148, v86
	v_add_f32_e32 v59, v87, v59
	v_fma_f32 v86, 0x3f6eb680, v70, -v175
	v_add_f32_e32 v87, v172, v85
	v_fmac_f32_e32 v177, 0x3dbcf732, v78
	v_mul_f32_e32 v128, 0xbe3c28d5, v47
	v_add_f32_e32 v85, v127, v58
	v_add_f32_e32 v58, v86, v59
	v_fma_f32 v59, 0x3dbcf732, v79, -v178
	v_add_f32_e32 v86, v177, v87
	v_fma_f32 v87, 0xbf7ba420, v39, -v128
	v_mul_f32_e32 v127, 0xbe3c28d5, v46
	v_mul_f32_e32 v129, 0x3f763a35, v54
	v_add_f32_e32 v58, v59, v58
	v_mul_f32_e32 v130, 0x3f763a35, v53
	v_add_f32_e32 v59, v87, v75
	v_fmamk_f32 v75, v38, 0xbf7ba420, v127
	v_fma_f32 v87, 0xbe8c1d8e, v44, -v129
	v_mul_f32_e32 v132, 0x3eb8f4ab, v61
	v_fmac_f32_e32 v134, 0xbf59a7d5, v126
	v_mul_f32_e32 v142, 0x3eb8f4ab, v60
	v_add_f32_e32 v74, v75, v74
	v_add_f32_e32 v59, v87, v59
	v_fmamk_f32 v75, v45, 0xbe8c1d8e, v130
	v_fma_f32 v87, 0x3f6eb680, v55, -v132
	v_mul_f32_e32 v143, 0xbf65296c, v69
	v_fma_f32 v141, 0xbf59a7d5, v125, -v141
	v_add_f32_e32 v86, v134, v86
	v_add_f32_e32 v74, v75, v74
	v_add_f32_e32 v59, v87, v59
	v_fmamk_f32 v75, v52, 0x3f6eb680, v142
	v_fma_f32 v134, 0x3ee437d1, v64, -v143
	v_mul_f32_e32 v144, 0xbf65296c, v68
	v_mul_f32_e32 v145, 0xbf06c442, v77
	v_add_f32_e32 v87, v141, v58
	v_add_f32_e32 v58, v75, v74
	;; [unrolled: 1-line block ×3, first 2 shown]
	v_fmamk_f32 v74, v65, 0x3ee437d1, v144
	v_mul_f32_e32 v134, 0xbf06c442, v76
	v_fma_f32 v75, 0xbf59a7d5, v71, -v145
	v_mul_f32_e32 v141, 0x3f4c4adb, v124
	v_fmac_f32_e32 v128, 0xbf7ba420, v39
	v_add_f32_e32 v58, v74, v58
	v_fmamk_f32 v74, v70, 0xbf59a7d5, v134
	v_add_f32_e32 v59, v75, v59
	v_fma_f32 v75, 0xbf1a4643, v78, -v141
	v_add_f32_e32 v73, v128, v73
	v_fma_f32 v127, 0xbf7ba420, v38, -v127
	v_fmac_f32_e32 v129, 0xbe8c1d8e, v44
	v_add_f32_e32 v58, v74, v58
	v_mul_f32_e32 v74, 0x3f4c4adb, v123
	v_add_f32_e32 v59, v75, v59
	v_add_f32_e32 v72, v127, v72
	;; [unrolled: 1-line block ×3, first 2 shown]
	v_fma_f32 v75, 0xbe8c1d8e, v45, -v130
	v_fmac_f32_e32 v132, 0x3f6eb680, v55
	v_fmamk_f32 v127, v79, 0xbf1a4643, v74
	v_mul_f32_e32 v128, 0x3f2c7751, v133
	v_mul_f32_e32 v129, 0x3f2c7751, v131
	v_add_f32_e32 v72, v75, v72
	v_add_f32_e32 v73, v132, v73
	v_fma_f32 v75, 0x3f6eb680, v52, -v142
	v_fmac_f32_e32 v143, 0x3ee437d1, v64
	v_add_f32_e32 v127, v127, v58
	v_fma_f32 v58, 0x3f3d2fb0, v126, -v128
	v_fmamk_f32 v130, v125, 0x3f3d2fb0, v129
	v_add_f32_e32 v72, v75, v72
	v_add_f32_e32 v73, v143, v73
	v_fma_f32 v75, 0x3ee437d1, v65, -v144
	v_fmac_f32_e32 v145, 0xbf59a7d5, v71
	v_add_f32_e32 v58, v58, v59
	v_add_f32_e32 v59, v130, v127
	v_mul_f32_e32 v127, 0x3f06c442, v47
	v_add_f32_e32 v72, v75, v72
	v_add_f32_e32 v73, v145, v73
	v_fma_f32 v75, 0xbf59a7d5, v70, -v134
	v_fmac_f32_e32 v141, 0xbf1a4643, v78
	v_fma_f32 v130, 0xbf59a7d5, v39, -v127
	v_mul_f32_e32 v132, 0x3f06c442, v46
	v_mul_f32_e32 v134, 0x3f2c7751, v54
	v_add_f32_e32 v72, v75, v72
	v_add_f32_e32 v73, v141, v73
	;; [unrolled: 1-line block ×3, first 2 shown]
	v_fmamk_f32 v75, v38, 0xbf59a7d5, v132
	v_fma_f32 v130, 0x3f3d2fb0, v44, -v134
	v_mul_f32_e32 v141, 0x3f2c7751, v53
	v_mul_f32_e32 v142, 0xbf65296c, v61
	v_fma_f32 v74, 0xbf1a4643, v79, -v74
	v_add_f32_e32 v66, v75, v66
	v_add_f32_e32 v67, v130, v67
	v_fmamk_f32 v75, v45, 0x3f3d2fb0, v141
	v_fma_f32 v130, 0x3ee437d1, v55, -v142
	v_mul_f32_e32 v143, 0xbf65296c, v60
	v_mul_f32_e32 v144, 0xbe3c28d5, v69
	v_add_f32_e32 v72, v74, v72
	v_add_f32_e32 v66, v75, v66
	;; [unrolled: 1-line block ×3, first 2 shown]
	v_fmamk_f32 v74, v52, 0x3ee437d1, v143
	v_fma_f32 v75, 0xbf7ba420, v64, -v144
	v_mul_f32_e32 v145, 0xbe3c28d5, v68
	v_mul_f32_e32 v146, 0x3f7ee86f, v77
	;; [unrolled: 1-line block ×3, first 2 shown]
	v_add_f32_e32 v66, v74, v66
	v_add_f32_e32 v67, v75, v67
	v_fmamk_f32 v74, v65, 0xbf7ba420, v145
	v_fma_f32 v75, 0x3dbcf732, v71, -v146
	v_mul_f32_e32 v148, 0xbeb8f4ab, v124
	v_fmac_f32_e32 v128, 0x3f3d2fb0, v126
	v_mul_f32_e32 v149, 0xbeb8f4ab, v123
	v_add_f32_e32 v66, v74, v66
	v_add_f32_e32 v67, v75, v67
	v_fmamk_f32 v74, v70, 0x3dbcf732, v147
	v_fma_f32 v75, 0x3f6eb680, v78, -v148
	v_mul_f32_e32 v150, 0xbf4c4adb, v133
	v_fma_f32 v130, 0x3f3d2fb0, v125, -v129
	v_add_f32_e32 v129, v128, v73
	v_add_f32_e32 v66, v74, v66
	;; [unrolled: 1-line block ×3, first 2 shown]
	v_fmamk_f32 v73, v79, 0x3f6eb680, v149
	v_fma_f32 v74, 0xbf1a4643, v126, -v150
	v_mul_f32_e32 v75, 0x3f763a35, v47
	v_mul_f32_e32 v128, 0x3f763a35, v46
	v_add_f32_e32 v130, v130, v72
	v_add_f32_e32 v72, v73, v66
	;; [unrolled: 1-line block ×3, first 2 shown]
	v_fma_f32 v67, 0xbe8c1d8e, v39, -v75
	v_fmamk_f32 v73, v38, 0xbe8c1d8e, v128
	v_mul_f32_e32 v74, 0xbeb8f4ab, v54
	v_mul_f32_e32 v151, 0xbeb8f4ab, v53
	;; [unrolled: 1-line block ×3, first 2 shown]
	v_add_f32_e32 v62, v67, v62
	v_add_f32_e32 v63, v73, v63
	v_fma_f32 v67, 0x3f6eb680, v44, -v74
	v_fmamk_f32 v73, v45, 0x3f6eb680, v151
	v_mul_f32_e32 v153, 0xbf06c442, v61
	v_mul_f32_e32 v155, 0xbf06c442, v60
	v_fmamk_f32 v154, v125, 0xbf1a4643, v152
	v_add_f32_e32 v62, v67, v62
	v_add_f32_e32 v63, v73, v63
	v_fma_f32 v73, 0xbf59a7d5, v55, -v153
	v_mul_f32_e32 v156, 0x3f7ee86f, v69
	v_fmamk_f32 v157, v52, 0xbf59a7d5, v155
	v_mul_f32_e32 v158, 0x3f7ee86f, v68
	v_add_f32_e32 v67, v154, v72
	v_add_f32_e32 v62, v73, v62
	v_fma_f32 v72, 0x3dbcf732, v64, -v156
	v_add_f32_e32 v63, v157, v63
	v_fmamk_f32 v73, v65, 0x3dbcf732, v158
	v_mul_f32_e32 v154, 0xbf2c7751, v77
	v_mul_f32_e32 v157, 0xbf2c7751, v76
	v_fmac_f32_e32 v75, 0xbe8c1d8e, v39
	v_add_f32_e32 v62, v72, v62
	v_add_f32_e32 v63, v73, v63
	v_fma_f32 v72, 0x3f3d2fb0, v71, -v154
	v_fmamk_f32 v73, v70, 0x3f3d2fb0, v157
	v_mul_f32_e32 v159, 0xbe3c28d5, v124
	v_add_f32_e32 v57, v75, v57
	v_fma_f32 v75, 0xbe8c1d8e, v38, -v128
	v_fmac_f32_e32 v74, 0x3f6eb680, v44
	v_add_f32_e32 v62, v72, v62
	v_add_f32_e32 v63, v73, v63
	v_fma_f32 v72, 0xbf7ba420, v78, -v159
	v_add_f32_e32 v56, v75, v56
	v_add_f32_e32 v57, v74, v57
	v_fma_f32 v73, 0x3f6eb680, v45, -v151
	v_fmac_f32_e32 v153, 0xbf59a7d5, v55
	v_add_f32_e32 v62, v72, v62
	v_mul_f32_e32 v72, 0xbe3c28d5, v123
	v_mul_f32_e32 v74, 0x3f65296c, v133
	v_add_f32_e32 v56, v73, v56
	v_add_f32_e32 v57, v153, v57
	v_fma_f32 v73, 0xbf59a7d5, v52, -v155
	v_fmac_f32_e32 v156, 0x3dbcf732, v64
	v_fmamk_f32 v75, v79, 0xbf7ba420, v72
	v_fma_f32 v128, 0x3ee437d1, v126, -v74
	v_mul_f32_e32 v151, 0x3f65296c, v131
	v_add_f32_e32 v73, v73, v56
	v_add_f32_e32 v57, v156, v57
	v_fma_f32 v153, 0x3dbcf732, v65, -v158
	v_fmac_f32_e32 v154, 0x3f3d2fb0, v71
	v_add_f32_e32 v63, v75, v63
	v_add_f32_e32 v56, v128, v62
	v_fmamk_f32 v62, v125, 0x3ee437d1, v151
	v_add_f32_e32 v73, v153, v73
	v_add_f32_e32 v75, v154, v57
	v_fma_f32 v128, 0x3f3d2fb0, v70, -v157
	v_fmac_f32_e32 v159, 0xbf7ba420, v78
	v_mul_f32_e32 v153, 0x3f65296c, v47
	v_mul_f32_e32 v154, 0x3f65296c, v46
	v_add_f32_e32 v57, v62, v63
	v_add_f32_e32 v62, v128, v73
	;; [unrolled: 1-line block ×3, first 2 shown]
	v_fma_f32 v73, 0x3ee437d1, v39, -v153
	v_fmamk_f32 v75, v38, 0x3ee437d1, v154
	v_mul_f32_e32 v128, 0xbf7ee86f, v54
	v_mul_f32_e32 v155, 0xbf7ee86f, v53
	v_fma_f32 v72, 0xbf7ba420, v79, -v72
	v_add_f32_e32 v50, v73, v50
	v_add_f32_e32 v51, v75, v51
	v_fma_f32 v73, 0x3dbcf732, v44, -v128
	v_fmamk_f32 v75, v45, 0x3dbcf732, v155
	v_mul_f32_e32 v156, 0x3f4c4adb, v61
	v_mul_f32_e32 v157, 0x3f4c4adb, v60
	v_add_f32_e32 v62, v72, v62
	v_add_f32_e32 v50, v73, v50
	;; [unrolled: 1-line block ×3, first 2 shown]
	v_fma_f32 v72, 0xbf1a4643, v55, -v156
	v_fmamk_f32 v73, v52, 0xbf1a4643, v157
	v_mul_f32_e32 v75, 0xbeb8f4ab, v69
	v_mul_f32_e32 v158, 0xbeb8f4ab, v68
	v_fma_f32 v151, 0x3ee437d1, v125, -v151
	v_add_f32_e32 v50, v72, v50
	v_add_f32_e32 v51, v73, v51
	v_fma_f32 v72, 0x3f6eb680, v64, -v75
	v_mul_f32_e32 v73, 0xbe3c28d5, v77
	v_fmamk_f32 v159, v65, 0x3f6eb680, v158
	v_fmac_f32_e32 v153, 0x3ee437d1, v39
	v_fmac_f32_e32 v74, 0x3ee437d1, v126
	v_add_f32_e32 v72, v72, v50
	v_fma_f32 v161, 0xbf7ba420, v71, -v73
	v_add_f32_e32 v159, v159, v51
	v_add_f32_e32 v51, v151, v62
	;; [unrolled: 1-line block ×3, first 2 shown]
	v_fmac_f32_e32 v128, 0x3dbcf732, v44
	v_add_f32_e32 v62, v161, v72
	v_fma_f32 v72, 0x3ee437d1, v38, -v154
	v_mul_f32_e32 v160, 0xbe3c28d5, v76
	v_add_f32_e32 v50, v74, v63
	v_mul_f32_e32 v74, 0x3f2c7751, v124
	v_add_f32_e32 v49, v128, v49
	v_add_f32_e32 v48, v72, v48
	v_fma_f32 v72, 0x3dbcf732, v45, -v155
	v_fmac_f32_e32 v156, 0xbf1a4643, v55
	v_fmamk_f32 v162, v70, 0xbf7ba420, v160
	v_mul_f32_e32 v151, 0x3f2c7751, v123
	v_fma_f32 v153, 0x3f3d2fb0, v78, -v74
	v_add_f32_e32 v48, v72, v48
	v_fma_f32 v72, 0xbf1a4643, v52, -v157
	v_add_f32_e32 v49, v156, v49
	v_fmac_f32_e32 v75, 0x3f6eb680, v64
	v_add_f32_e32 v63, v162, v159
	v_fmamk_f32 v154, v79, 0x3f3d2fb0, v151
	v_add_f32_e32 v48, v72, v48
	v_fma_f32 v72, 0x3f6eb680, v65, -v158
	v_add_f32_e32 v62, v153, v62
	v_mul_f32_e32 v128, 0xbf763a35, v133
	v_mul_f32_e32 v153, 0xbf763a35, v131
	v_add_f32_e32 v49, v75, v49
	v_fmac_f32_e32 v73, 0xbf7ba420, v71
	v_add_f32_e32 v48, v72, v48
	v_fma_f32 v72, 0xbf7ba420, v70, -v160
	v_add_f32_e32 v63, v154, v63
	v_fma_f32 v75, 0xbe8c1d8e, v126, -v128
	v_fmamk_f32 v154, v125, 0xbe8c1d8e, v153
	v_add_f32_e32 v73, v73, v49
	v_fmac_f32_e32 v74, 0x3f3d2fb0, v78
	v_add_f32_e32 v72, v72, v48
	v_fma_f32 v151, 0x3f3d2fb0, v79, -v151
	v_add_f32_e32 v48, v75, v62
	v_add_f32_e32 v49, v154, v63
	;; [unrolled: 1-line block ×3, first 2 shown]
	v_mul_f32_e32 v63, 0x3eb8f4ab, v47
	v_add_f32_e32 v47, v151, v72
	v_fmac_f32_e32 v128, 0xbe8c1d8e, v126
	v_mul_f32_e32 v72, 0x3eb8f4ab, v46
	v_mul_f32_e32 v54, 0xbf06c442, v54
	v_fma_f32 v74, 0x3f6eb680, v39, -v63
	v_mul_f32_e32 v53, 0xbf06c442, v53
	v_add_f32_e32 v46, v128, v62
	v_fmamk_f32 v62, v38, 0x3f6eb680, v72
	v_mul_f32_e32 v61, 0x3f2c7751, v61
	v_add_f32_e32 v43, v74, v43
	v_fma_f32 v74, 0xbf59a7d5, v44, -v54
	v_mul_f32_e32 v60, 0x3f2c7751, v60
	v_add_f32_e32 v42, v62, v42
	v_fmamk_f32 v62, v45, 0xbf59a7d5, v53
	v_mul_f32_e32 v69, 0xbf4c4adb, v69
	v_add_f32_e32 v43, v74, v43
	;; [unrolled: 6-line block ×3, first 2 shown]
	v_fma_f32 v74, 0xbf1a4643, v64, -v69
	v_mul_f32_e32 v76, 0x3f65296c, v76
	v_add_f32_e32 v42, v62, v42
	v_fmamk_f32 v62, v65, 0xbf1a4643, v68
	v_fma_f32 v73, 0xbe8c1d8e, v125, -v153
	v_add_f32_e32 v43, v74, v43
	v_fma_f32 v74, 0x3ee437d1, v71, -v75
	v_mul_f32_e32 v77, 0xbf763a35, v124
	v_add_f32_e32 v42, v62, v42
	v_fmamk_f32 v62, v70, 0x3ee437d1, v76
	v_add_f32_e32 v47, v73, v47
	v_add_f32_e32 v43, v74, v43
	v_fma_f32 v73, 0xbe8c1d8e, v78, -v77
	v_mul_f32_e32 v74, 0xbf763a35, v123
	v_add_f32_e32 v42, v62, v42
	v_mul_f32_e32 v62, 0x3f7ee86f, v133
	v_fmac_f32_e32 v63, 0x3f6eb680, v39
	v_add_f32_e32 v43, v73, v43
	v_fmamk_f32 v73, v79, 0xbe8c1d8e, v74
	v_mul_f32_e32 v123, 0x3f7ee86f, v131
	v_fma_f32 v124, 0x3dbcf732, v126, -v62
	v_fma_f32 v72, 0x3f6eb680, v38, -v72
	v_fmac_f32_e32 v127, 0xbf59a7d5, v39
	v_fma_f32 v38, 0xbf59a7d5, v38, -v132
	v_add_f32_e32 v63, v63, v41
	v_fmac_f32_e32 v54, 0xbf59a7d5, v44
	v_add_f32_e32 v42, v73, v42
	v_add_f32_e32 v41, v124, v43
	v_fmamk_f32 v43, v125, 0x3dbcf732, v123
	v_add_f32_e32 v40, v72, v40
	v_fma_f32 v53, 0xbf59a7d5, v45, -v53
	v_add_f32_e32 v32, v127, v32
	v_add_f32_e32 v33, v38, v33
	v_fmac_f32_e32 v134, 0x3f3d2fb0, v44
	v_fma_f32 v38, 0x3f3d2fb0, v45, -v141
	v_add_f32_e32 v54, v54, v63
	v_fmac_f32_e32 v61, 0x3f3d2fb0, v55
	v_add_f32_e32 v42, v43, v42
	v_add_f32_e32 v39, v53, v40
	v_fma_f32 v43, 0x3f3d2fb0, v52, -v60
	v_add_f32_e32 v32, v134, v32
	v_add_f32_e32 v33, v38, v33
	v_fmac_f32_e32 v142, 0x3ee437d1, v55
	v_fma_f32 v38, 0x3ee437d1, v52, -v143
	v_add_f32_e32 v40, v61, v54
	v_add_f32_e32 v39, v43, v39
	v_fmac_f32_e32 v69, 0xbf1a4643, v64
	;; [unrolled: 4-line block ×5, first 2 shown]
	v_fma_f32 v38, 0x3dbcf732, v70, -v147
	v_add_f32_e32 v40, v75, v40
	v_fmac_f32_e32 v77, 0xbe8c1d8e, v78
	v_add_f32_e32 v39, v43, v39
	v_fma_f32 v43, 0xbe8c1d8e, v79, -v74
	v_add_f32_e32 v32, v146, v32
	v_add_f32_e32 v33, v38, v33
	v_fmac_f32_e32 v148, 0x3f6eb680, v78
	v_fma_f32 v38, 0x3f6eb680, v79, -v149
	v_add_f32_e32 v40, v77, v40
	v_add_f32_e32 v39, v43, v39
	v_fmac_f32_e32 v62, 0x3dbcf732, v126
	;; [unrolled: 4-line block ×3, first 2 shown]
	v_fma_f32 v45, 0xbf1a4643, v125, -v152
	v_add_f32_e32 v32, v62, v40
	v_add_f32_e32 v33, v43, v39
                                        ; implicit-def: $vgpr133
	v_add_f32_e32 v131, v150, v44
	v_add_f32_e32 v132, v45, v38
	ds_write2_b64 v139, v[58:59], v[66:67] offset0:68 offset1:85
	ds_write2_b64 v139, v[56:57], v[48:49] offset0:102 offset1:119
	;; [unrolled: 1-line block ×6, first 2 shown]
	ds_write_b64 v139, v[82:83] offset:2176
	v_add_nc_u32_e32 v32, 0x2000, v135
	v_add_nc_u32_e32 v33, 0x2c00, v135
	s_waitcnt lgkmcnt(0)
	s_barrier
	buffer_gl0_inv
	ds_read2_b64 v[76:79], v35 offset0:33 offset1:135
	ds_read2_b64 v[72:75], v36 offset0:66 offset1:168
	;; [unrolled: 1-line block ×5, first 2 shown]
	ds_read2_b64 v[56:59], v135 offset1:102
	s_and_saveexec_b32 s0, vcc_lo
	s_cbranch_execz .LBB0_3
; %bb.2:
	ds_read_b64 v[131:132], v135 offset:1632
	ds_read_b64 v[129:130], v135 offset:3944
	;; [unrolled: 1-line block ×6, first 2 shown]
.LBB0_3:
	s_or_b32 exec_lo, exec_lo, s0
	v_mad_u64_u32 v[32:33], null, v136, 40, s[2:3]
	v_add_co_u32 v34, s0, 0x800, v32
	v_add_co_ci_u32_e64 v35, s0, 0, v33, s0
	v_add_co_u32 v36, s0, 0x880, v32
	v_add_co_ci_u32_e64 v37, s0, 0, v33, s0
	s_clause 0x2
	global_load_dwordx4 v[48:51], v[34:35], off offset:128
	global_load_dwordx2 v[125:126], v[36:37], off offset:32
	global_load_dwordx4 v[40:43], v[36:37], off offset:16
	v_add_co_u32 v34, s0, 0x1800, v32
	v_add_co_ci_u32_e64 v35, s0, 0, v33, s0
	v_add_co_u32 v32, s0, 0x1870, v32
	v_add_co_ci_u32_e64 v33, s0, 0, v33, s0
	s_clause 0x2
	global_load_dwordx4 v[52:55], v[34:35], off offset:112
	global_load_dwordx4 v[44:47], v[32:33], off offset:16
	global_load_dwordx2 v[127:128], v[32:33], off offset:32
	v_add_nc_u32_e32 v32, 0xcc, v136
	v_add_nc_u32_e32 v33, 0xffffffab, v136
	v_cndmask_b32_e32 v32, v33, v32, vcc_lo
	v_mul_i32_i24_e32 v33, 40, v32
	v_mul_hi_i32_i24_e32 v32, 40, v32
	v_add_co_u32 v34, s0, s2, v33
	v_add_co_ci_u32_e64 v35, s0, s3, v32, s0
	v_add_co_u32 v32, s0, 0x800, v34
	v_add_co_ci_u32_e64 v33, s0, 0, v35, s0
	;; [unrolled: 2-line block ×3, first 2 shown]
	s_clause 0x2
	global_load_dwordx4 v[36:39], v[32:33], off offset:128
	global_load_dwordx4 v[32:35], v[123:124], off offset:16
	global_load_dwordx2 v[123:124], v[123:124], off offset:32
	s_waitcnt vmcnt(8) lgkmcnt(5)
	v_mul_f32_e32 v141, v77, v49
	v_mul_f32_e32 v142, v76, v49
	s_waitcnt lgkmcnt(4)
	v_mul_f32_e32 v143, v73, v51
	v_mul_f32_e32 v144, v72, v51
	s_waitcnt vmcnt(6) lgkmcnt(3)
	v_mul_f32_e32 v145, v69, v41
	v_mul_f32_e32 v146, v68, v41
	s_waitcnt lgkmcnt(2)
	v_mul_f32_e32 v147, v65, v43
	v_mul_f32_e32 v148, v64, v43
	s_waitcnt lgkmcnt(1)
	v_mul_f32_e32 v149, v61, v126
	v_mul_f32_e32 v150, v60, v126
	v_fma_f32 v76, v76, v48, -v141
	s_waitcnt vmcnt(5)
	v_mul_f32_e32 v151, v79, v53
	v_mul_f32_e32 v152, v78, v53
	;; [unrolled: 1-line block ×4, first 2 shown]
	s_waitcnt vmcnt(4)
	v_mul_f32_e32 v155, v71, v45
	v_mul_f32_e32 v156, v70, v45
	;; [unrolled: 1-line block ×4, first 2 shown]
	s_waitcnt vmcnt(3)
	v_mul_f32_e32 v159, v63, v128
	v_mul_f32_e32 v160, v62, v128
	v_fmac_f32_e32 v142, v77, v48
	v_fma_f32 v72, v72, v50, -v143
	v_fmac_f32_e32 v144, v73, v50
	v_fma_f32 v68, v68, v40, -v145
	;; [unrolled: 2-line block ×9, first 2 shown]
	v_fmac_f32_e32 v160, v63, v127
	s_waitcnt lgkmcnt(0)
	v_add_f32_e32 v70, v56, v72
	v_add_f32_e32 v71, v72, v69
	v_sub_f32_e32 v73, v144, v148
	v_add_f32_e32 v74, v57, v144
	v_add_f32_e32 v75, v144, v148
	;; [unrolled: 1-line block ×3, first 2 shown]
	v_sub_f32_e32 v141, v146, v150
	v_add_f32_e32 v143, v142, v146
	v_add_f32_e32 v144, v146, v150
	;; [unrolled: 1-line block ×4, first 2 shown]
	v_sub_f32_e32 v147, v154, v158
	v_add_f32_e32 v149, v59, v154
	v_add_f32_e32 v151, v154, v158
	v_sub_f32_e32 v153, v60, v66
	v_add_f32_e32 v154, v78, v61
	v_add_f32_e32 v155, v61, v67
	;; [unrolled: 1-line block ×3, first 2 shown]
	v_sub_f32_e32 v161, v61, v67
	s_waitcnt vmcnt(2)
	v_mul_f32_e32 v163, v87, v39
	v_mul_f32_e32 v64, v86, v39
	s_waitcnt vmcnt(1)
	v_mul_f32_e32 v164, v85, v33
	v_mul_f32_e32 v63, v84, v33
	;; [unrolled: 1-line block ×4, first 2 shown]
	s_waitcnt vmcnt(0)
	v_mul_f32_e32 v166, v134, v124
	v_mul_f32_e32 v61, v133, v124
	v_sub_f32_e32 v72, v72, v69
	v_add_f32_e32 v79, v68, v65
	v_sub_f32_e32 v68, v68, v65
	v_sub_f32_e32 v157, v156, v160
	v_add_f32_e32 v156, v156, v160
	v_mul_f32_e32 v162, v130, v37
	v_mul_f32_e32 v62, v129, v37
	v_add_f32_e32 v69, v70, v69
	v_fma_f32 v167, -0.5, v71, v56
	v_add_f32_e32 v70, v74, v148
	v_fma_f32 v148, -0.5, v75, v57
	v_add_f32_e32 v71, v77, v65
	v_add_f32_e32 v74, v143, v150
	;; [unrolled: 1-line block ×6, first 2 shown]
	v_fma_f32 v65, v86, v38, -v163
	v_fmac_f32_e32 v64, v87, v38
	v_fma_f32 v66, v84, v32, -v164
	v_fmac_f32_e32 v63, v85, v32
	;; [unrolled: 2-line block ×4, first 2 shown]
	v_fmac_f32_e32 v76, -0.5, v79
	v_fmac_f32_e32 v142, -0.5, v144
	v_fma_f32 v79, -0.5, v146, v58
	v_fmac_f32_e32 v152, -0.5, v156
	v_fma_f32 v58, v129, v36, -v162
	v_fmac_f32_e32 v62, v130, v36
	v_fmamk_f32 v144, v73, 0x3f5db3d7, v167
	v_fmac_f32_e32 v167, 0xbf5db3d7, v73
	v_fmamk_f32 v145, v72, 0xbf5db3d7, v148
	v_fmac_f32_e32 v148, 0x3f5db3d7, v72
	v_sub_f32_e32 v72, v69, v71
	v_sub_f32_e32 v73, v70, v74
	v_add_f32_e32 v84, v75, v67
	v_add_f32_e32 v85, v77, v143
	v_sub_f32_e32 v86, v75, v67
	v_sub_f32_e32 v87, v77, v143
	v_add_f32_e32 v75, v65, v56
	v_add_f32_e32 v77, v64, v60
	v_add_f32_e32 v133, v66, v57
	v_add_f32_e32 v134, v63, v61
	v_fmac_f32_e32 v78, -0.5, v155
	v_fmamk_f32 v129, v141, 0x3f5db3d7, v76
	v_fmamk_f32 v130, v68, 0xbf5db3d7, v142
	v_fmac_f32_e32 v142, 0x3f5db3d7, v68
	v_add_f32_e32 v82, v69, v71
	v_add_f32_e32 v83, v70, v74
	v_fmamk_f32 v74, v161, 0xbf5db3d7, v152
	v_fmac_f32_e32 v152, 0x3f5db3d7, v161
	v_sub_f32_e32 v70, v63, v61
	v_sub_f32_e32 v71, v66, v57
	ds_write_b64 v135, v[72:73] offset:6936
	v_fma_f32 v72, -0.5, v75, v131
	v_fma_f32 v73, -0.5, v77, v132
	;; [unrolled: 1-line block ×4, first 2 shown]
	v_fmac_f32_e32 v76, 0xbf5db3d7, v141
	v_fmac_f32_e32 v59, -0.5, v151
	v_fmamk_f32 v149, v147, 0x3f5db3d7, v79
	v_fmac_f32_e32 v79, 0xbf5db3d7, v147
	v_fmamk_f32 v69, v157, 0x3f5db3d7, v78
	v_fmac_f32_e32 v78, 0xbf5db3d7, v157
	v_mul_f32_e32 v141, 0x3f5db3d7, v130
	v_mul_f32_e32 v146, 0xbf5db3d7, v129
	v_mul_f32_e32 v147, -0.5, v142
	v_mul_f32_e32 v155, -0.5, v152
	v_fmamk_f32 v156, v70, 0xbf5db3d7, v77
	v_fmamk_f32 v157, v71, 0x3f5db3d7, v75
	v_mul_f32_e32 v143, -0.5, v76
	v_fmamk_f32 v150, v153, 0xbf5db3d7, v59
	v_fmac_f32_e32 v59, 0x3f5db3d7, v153
	v_sub_f32_e32 v67, v64, v60
	v_sub_f32_e32 v68, v65, v56
	v_mul_f32_e32 v151, 0x3f5db3d7, v74
	v_mul_f32_e32 v153, -0.5, v78
	v_mul_f32_e32 v154, 0xbf5db3d7, v69
	v_fmac_f32_e32 v141, 0.5, v129
	v_fmac_f32_e32 v146, 0.5, v130
	v_fmac_f32_e32 v147, 0xbf5db3d7, v76
	v_fmac_f32_e32 v155, 0xbf5db3d7, v78
	v_mul_f32_e32 v76, -0.5, v156
	v_mul_f32_e32 v78, -0.5, v157
	v_fmac_f32_e32 v143, 0x3f5db3d7, v142
	v_fmac_f32_e32 v151, 0.5, v69
	v_fmac_f32_e32 v154, 0.5, v74
	v_fmamk_f32 v69, v67, 0xbf5db3d7, v72
	v_fmamk_f32 v74, v68, 0x3f5db3d7, v73
	v_add_f32_e32 v129, v144, v141
	v_add_f32_e32 v130, v145, v146
	v_fmac_f32_e32 v76, 0x3f5db3d7, v157
	v_fmac_f32_e32 v78, 0xbf5db3d7, v156
	;; [unrolled: 1-line block ×3, first 2 shown]
	v_add_f32_e32 v133, v167, v143
	v_add_f32_e32 v134, v148, v147
	v_sub_f32_e32 v141, v144, v141
	v_sub_f32_e32 v142, v145, v146
	v_add_f32_e32 v145, v149, v151
	v_add_f32_e32 v146, v150, v154
	ds_write_b64 v135, v[129:130] offset:2312
	ds_write_b64 v135, v[133:134] offset:4624
	v_sub_f32_e32 v129, v69, v76
	v_sub_f32_e32 v130, v74, v78
	;; [unrolled: 1-line block ×4, first 2 shown]
	v_add_f32_e32 v147, v79, v153
	v_add_f32_e32 v148, v59, v155
	v_sub_f32_e32 v149, v149, v151
	v_sub_f32_e32 v150, v150, v154
	;; [unrolled: 1-line block ×4, first 2 shown]
	ds_write_b64 v135, v[141:142] offset:9248
	ds_write_b64 v135, v[143:144] offset:11560
	ds_write2_b64 v135, v[82:83], v[84:85] offset1:102
	ds_write_b64 v135, v[145:146] offset:3128
	ds_write_b64 v135, v[147:148] offset:5440
	;; [unrolled: 1-line block ×5, first 2 shown]
	s_and_saveexec_b32 s0, vcc_lo
	s_cbranch_execz .LBB0_5
; %bb.4:
	v_mul_f32_e32 v59, 0x3f5db3d7, v70
	v_mul_f32_e32 v70, 0x3f5db3d7, v71
	v_mul_f32_e32 v68, 0x3f5db3d7, v68
	v_add_f32_e32 v64, v132, v64
	v_add_f32_e32 v58, v58, v66
	;; [unrolled: 1-line block ×4, first 2 shown]
	v_sub_f32_e32 v63, v75, v70
	v_add_f32_e32 v62, v131, v65
	v_mul_f32_e32 v67, 0x3f5db3d7, v67
	v_mul_f32_e32 v65, 0x3f5db3d7, v71
	v_sub_f32_e32 v66, v73, v68
	v_mul_f32_e32 v68, 0x3f5db3d7, v63
	v_add_f32_e32 v60, v64, v60
	v_add_f32_e32 v64, v59, v61
	v_fma_f32 v65, v63, 0.5, -v65
	v_add_f32_e32 v56, v62, v56
	v_add_f32_e32 v58, v58, v57
	v_add_f32_e32 v67, v67, v72
	v_fmac_f32_e32 v68, 0.5, v71
	v_sub_f32_e32 v57, v60, v64
	v_sub_f32_e32 v59, v66, v65
	v_add_f32_e32 v63, v66, v65
	v_add_f32_e32 v65, v60, v64
	;; [unrolled: 1-line block ×6, first 2 shown]
	v_sub_f32_e32 v56, v56, v58
	v_sub_f32_e32 v58, v67, v68
	ds_write_b64 v135, v[64:65] offset:1632
	ds_write_b64 v135, v[62:63] offset:3944
	;; [unrolled: 1-line block ×6, first 2 shown]
.LBB0_5:
	s_or_b32 exec_lo, exec_lo, s0
	v_add_co_u32 v56, s0, 0x3630, v137
	v_add_co_ci_u32_e64 v57, s0, 0, v138, s0
	s_waitcnt lgkmcnt(0)
	s_barrier
	buffer_gl0_inv
	s_clause 0x1
	global_load_dwordx2 v[60:61], v[80:81], off offset:1584
	global_load_dwordx2 v[62:63], v[56:57], off offset:816
	v_add_co_u32 v58, s0, 0x3800, v137
	v_add_co_ci_u32_e64 v59, s0, 0, v138, s0
	v_add_co_u32 v64, s0, 0x4000, v137
	v_add_co_ci_u32_e64 v65, s0, 0, v138, s0
	;; [unrolled: 2-line block ×4, first 2 shown]
	s_clause 0x3
	global_load_dwordx2 v[84:85], v[56:57], off offset:1632
	global_load_dwordx2 v[86:87], v[58:59], off offset:1984
	;; [unrolled: 1-line block ×4, first 2 shown]
	v_add_co_u32 v56, s0, 0x5800, v137
	v_add_co_ci_u32_e64 v57, s0, 0, v138, s0
	v_add_co_u32 v58, s0, 0x6000, v137
	v_add_co_ci_u32_e64 v59, s0, 0, v138, s0
	s_clause 0x7
	global_load_dwordx2 v[146:147], v[66:67], off offset:336
	global_load_dwordx2 v[148:149], v[66:67], off offset:1152
	;; [unrolled: 1-line block ×8, first 2 shown]
	v_add_co_u32 v56, s0, 0x6800, v137
	v_add_co_ci_u32_e64 v57, s0, 0, v138, s0
	s_clause 0x2
	global_load_dwordx2 v[162:163], v[58:59], off offset:720
	global_load_dwordx2 v[164:165], v[58:59], off offset:1536
	;; [unrolled: 1-line block ×3, first 2 shown]
	ds_read2_b64 v[56:59], v135 offset1:102
	v_add_nc_u32_e32 v143, 0x400, v135
	v_add_nc_u32_e32 v133, 0x800, v135
	;; [unrolled: 1-line block ×7, first 2 shown]
	s_waitcnt vmcnt(16) lgkmcnt(0)
	v_mul_f32_e32 v65, v57, v61
	v_mul_f32_e32 v64, v56, v61
	s_waitcnt vmcnt(15)
	v_mul_f32_e32 v66, v59, v63
	v_mul_f32_e32 v61, v58, v63
	v_fma_f32 v63, v56, v60, -v65
	v_fmac_f32_e32 v64, v57, v60
	v_fma_f32 v60, v58, v62, -v66
	v_fmac_f32_e32 v61, v59, v62
	ds_write2_b64 v135, v[63:64], v[60:61] offset1:102
	ds_read2_b64 v[56:59], v143 offset0:76 offset1:178
	ds_read2_b64 v[60:63], v133 offset0:152 offset1:254
	;; [unrolled: 1-line block ×7, first 2 shown]
	ds_read_b64 v[168:169], v135 offset:13056
	s_waitcnt vmcnt(14) lgkmcnt(7)
	v_mul_f32_e32 v170, v57, v85
	v_mul_f32_e32 v171, v56, v85
	s_waitcnt vmcnt(13)
	v_mul_f32_e32 v172, v59, v87
	v_mul_f32_e32 v85, v58, v87
	s_waitcnt vmcnt(12) lgkmcnt(6)
	v_mul_f32_e32 v173, v61, v132
	v_mul_f32_e32 v87, v60, v132
	s_waitcnt vmcnt(11)
	v_mul_f32_e32 v174, v63, v145
	v_mul_f32_e32 v132, v62, v145
	s_waitcnt vmcnt(10) lgkmcnt(5)
	v_mul_f32_e32 v175, v65, v147
	v_mul_f32_e32 v145, v64, v147
	s_waitcnt vmcnt(9)
	v_mul_f32_e32 v176, v67, v149
	v_mul_f32_e32 v147, v66, v149
	s_waitcnt vmcnt(8) lgkmcnt(4)
	v_mul_f32_e32 v177, v69, v151
	v_mul_f32_e32 v149, v68, v151
	s_waitcnt vmcnt(7)
	v_mul_f32_e32 v178, v71, v153
	v_mul_f32_e32 v151, v70, v153
	s_waitcnt vmcnt(6) lgkmcnt(3)
	v_mul_f32_e32 v179, v73, v155
	v_mul_f32_e32 v153, v72, v155
	s_waitcnt vmcnt(5)
	v_mul_f32_e32 v180, v75, v157
	v_mul_f32_e32 v155, v74, v157
	s_waitcnt vmcnt(4) lgkmcnt(2)
	v_mul_f32_e32 v181, v77, v159
	v_mul_f32_e32 v157, v76, v159
	s_waitcnt vmcnt(3)
	v_mul_f32_e32 v182, v79, v161
	v_mul_f32_e32 v159, v78, v161
	s_waitcnt vmcnt(2) lgkmcnt(1)
	v_mul_f32_e32 v183, v81, v163
	v_mul_f32_e32 v161, v80, v163
	s_waitcnt vmcnt(1)
	v_mul_f32_e32 v184, v83, v165
	v_mul_f32_e32 v163, v82, v165
	s_waitcnt vmcnt(0) lgkmcnt(0)
	v_mul_f32_e32 v185, v169, v167
	v_mul_f32_e32 v165, v168, v167
	v_fma_f32 v170, v56, v84, -v170
	v_fmac_f32_e32 v171, v57, v84
	v_fma_f32 v84, v58, v86, -v172
	v_fmac_f32_e32 v85, v59, v86
	;; [unrolled: 2-line block ×15, first 2 shown]
	ds_write2_b64 v143, v[170:171], v[84:85] offset0:76 offset1:178
	ds_write2_b64 v133, v[86:87], v[131:132] offset0:152 offset1:254
	ds_write2_b64 v134, v[144:145], v[146:147] offset0:100 offset1:202
	ds_write2_b64 v137, v[148:149], v[150:151] offset0:48 offset1:150
	ds_write2_b64 v142, v[152:153], v[154:155] offset0:124 offset1:226
	ds_write2_b64 v138, v[156:157], v[158:159] offset0:72 offset1:174
	ds_write2_b64 v141, v[160:161], v[162:163] offset0:148 offset1:250
	ds_write_b64 v135, v[164:165] offset:13056
	s_waitcnt lgkmcnt(0)
	s_barrier
	buffer_gl0_inv
	ds_read2_b64 v[80:83], v135 offset1:102
	ds_read_b64 v[131:132], v135 offset:13056
	ds_read2_b64 v[84:87], v143 offset0:76 offset1:178
	ds_read2_b64 v[76:79], v141 offset0:148 offset1:250
	;; [unrolled: 1-line block ×7, first 2 shown]
	s_waitcnt lgkmcnt(0)
	s_barrier
	buffer_gl0_inv
	v_add_f32_e32 v151, v81, v83
	v_add_f32_e32 v150, v80, v82
	v_add_f32_e32 v146, v131, v82
	v_add_f32_e32 v157, v77, v87
	v_sub_f32_e32 v159, v87, v77
	v_add_f32_e32 v161, v151, v85
	v_add_f32_e32 v160, v150, v84
	v_add_f32_e32 v156, v76, v86
	v_sub_f32_e32 v158, v86, v76
	v_add_f32_e32 v144, v75, v69
	v_add_f32_e32 v87, v161, v87
	v_sub_f32_e32 v145, v69, v75
	v_add_f32_e32 v86, v160, v86
	v_add_f32_e32 v152, v132, v83
	v_sub_f32_e32 v147, v82, v131
	v_add_f32_e32 v69, v87, v69
	v_sub_f32_e32 v153, v83, v132
	;; [unrolled: 2-line block ×3, first 2 shown]
	v_add_f32_e32 v68, v86, v68
	v_add_f32_e32 v69, v69, v71
	;; [unrolled: 1-line block ×3, first 2 shown]
	v_mul_f32_e32 v163, 0x3f6eb680, v152
	v_sub_f32_e32 v149, v84, v78
	v_add_f32_e32 v68, v68, v70
	v_add_f32_e32 v69, v69, v61
	v_sub_f32_e32 v155, v85, v79
	v_mul_f32_e32 v162, 0xbeb8f4ab, v153
	v_mul_f32_e32 v164, 0xbf2c7751, v153
	v_add_f32_e32 v68, v68, v60
	v_add_f32_e32 v69, v69, v63
	v_mul_f32_e32 v165, 0x3f3d2fb0, v152
	v_mul_f32_e32 v166, 0xbf65296c, v153
	v_mul_f32_e32 v167, 0x3ee437d1, v152
	v_add_f32_e32 v68, v68, v62
	v_add_f32_e32 v69, v69, v57
	v_mul_f32_e32 v168, 0xbf7ee86f, v153
	;; [unrolled: 5-line block ×5, first 2 shown]
	v_mul_f32_e32 v177, 0x3f3d2fb0, v154
	v_fmamk_f32 v161, v147, 0x3eb8f4ab, v163
	v_fmac_f32_e32 v163, 0xbeb8f4ab, v147
	v_add_f32_e32 v68, v68, v66
	v_add_f32_e32 v69, v69, v73
	;; [unrolled: 1-line block ×3, first 2 shown]
	v_mul_f32_e32 v176, 0xbf2c7751, v155
	v_mul_f32_e32 v178, 0xbf7ee86f, v155
	;; [unrolled: 1-line block ×16, first 2 shown]
	v_fmamk_f32 v160, v146, 0x3f6eb680, v162
	v_fma_f32 v162, 0x3f6eb680, v146, -v162
	v_fmamk_f32 v206, v146, 0x3f3d2fb0, v164
	v_fmamk_f32 v207, v147, 0x3f2c7751, v165
	v_fma_f32 v164, 0x3f3d2fb0, v146, -v164
	v_fmac_f32_e32 v165, 0xbf2c7751, v147
	v_fmamk_f32 v208, v146, 0x3ee437d1, v166
	v_fmamk_f32 v209, v147, 0x3f65296c, v167
	v_fma_f32 v166, 0x3ee437d1, v146, -v166
	v_fmac_f32_e32 v167, 0xbf65296c, v147
	;; [unrolled: 4-line block ×7, first 2 shown]
	v_fmamk_f32 v153, v149, 0x3f2c7751, v177
	v_fmac_f32_e32 v177, 0xbf2c7751, v149
	v_add_f32_e32 v163, v81, v163
	v_add_f32_e32 v68, v68, v72
	;; [unrolled: 1-line block ×3, first 2 shown]
	v_mul_f32_e32 v190, 0xbf65296c, v159
	v_mul_f32_e32 v192, 0xbf4c4adb, v159
	;; [unrolled: 1-line block ×12, first 2 shown]
	v_fmamk_f32 v147, v148, 0x3f3d2fb0, v176
	v_fma_f32 v176, 0x3f3d2fb0, v148, -v176
	v_fmamk_f32 v220, v148, 0x3dbcf732, v178
	v_fmamk_f32 v221, v149, 0x3f7ee86f, v179
	v_fma_f32 v178, 0x3dbcf732, v148, -v178
	v_fmac_f32_e32 v179, 0xbf7ee86f, v149
	v_fmamk_f32 v222, v148, 0xbf1a4643, v180
	v_fmamk_f32 v223, v149, 0x3f4c4adb, v181
	v_fma_f32 v180, 0xbf1a4643, v148, -v180
	v_fmamk_f32 v224, v148, 0xbf7ba420, v182
	v_fma_f32 v182, 0xbf7ba420, v148, -v182
	;; [unrolled: 2-line block ×5, first 2 shown]
	v_fmamk_f32 v232, v148, 0x3f6eb680, v155
	v_fmamk_f32 v233, v149, 0xbeb8f4ab, v154
	v_fma_f32 v148, 0x3f6eb680, v148, -v155
	v_fmac_f32_e32 v154, 0x3eb8f4ab, v149
	v_fmamk_f32 v155, v158, 0x3f65296c, v191
	v_fmac_f32_e32 v191, 0xbf65296c, v158
	v_add_f32_e32 v160, v80, v160
	v_add_f32_e32 v161, v81, v161
	v_add_f32_e32 v162, v80, v162
	v_add_f32_e32 v206, v80, v206
	v_add_f32_e32 v207, v81, v207
	v_add_f32_e32 v164, v80, v164
	v_add_f32_e32 v165, v81, v165
	v_add_f32_e32 v208, v80, v208
	v_add_f32_e32 v209, v81, v209
	v_add_f32_e32 v166, v80, v166
	v_add_f32_e32 v167, v81, v167
	v_add_f32_e32 v210, v80, v210
	v_add_f32_e32 v211, v81, v211
	v_add_f32_e32 v168, v80, v168
	v_add_f32_e32 v169, v81, v169
	v_add_f32_e32 v212, v80, v212
	v_add_f32_e32 v213, v81, v213
	v_add_f32_e32 v170, v80, v170
	v_add_f32_e32 v171, v81, v171
	v_add_f32_e32 v214, v80, v214
	v_add_f32_e32 v215, v81, v215
	v_add_f32_e32 v172, v80, v172
	v_add_f32_e32 v173, v81, v173
	v_add_f32_e32 v216, v80, v216
	v_add_f32_e32 v217, v81, v217
	v_add_f32_e32 v174, v80, v174
	v_add_f32_e32 v175, v81, v175
	v_add_f32_e32 v218, v80, v218
	v_add_f32_e32 v86, v81, v219
	v_add_f32_e32 v80, v80, v146
	v_add_f32_e32 v81, v81, v152
	v_add_f32_e32 v152, v177, v163
	v_add_f32_e32 v68, v68, v74
	v_add_f32_e32 v69, v69, v77
	v_mul_f32_e32 v197, 0xbe8c1d8e, v157
	v_mul_f32_e32 v151, 0xbf7ba420, v144
	;; [unrolled: 1-line block ×4, first 2 shown]
	v_fmac_f32_e32 v181, 0xbf4c4adb, v149
	v_fmamk_f32 v225, v149, 0x3e3c28d5, v183
	v_fmac_f32_e32 v183, 0xbe3c28d5, v149
	v_fmamk_f32 v227, v149, 0xbf06c442, v185
	;; [unrolled: 2-line block ×5, first 2 shown]
	v_fma_f32 v190, 0x3ee437d1, v156, -v190
	v_fmamk_f32 v234, v156, 0xbf1a4643, v192
	v_fmamk_f32 v235, v158, 0x3f4c4adb, v193
	v_fma_f32 v192, 0xbf1a4643, v156, -v192
	v_fmac_f32_e32 v193, 0xbf4c4adb, v158
	v_fmamk_f32 v236, v156, 0xbf7ba420, v194
	v_fmamk_f32 v237, v158, 0xbe3c28d5, v195
	v_fma_f32 v194, 0xbf7ba420, v156, -v194
	v_fmamk_f32 v238, v156, 0xbe8c1d8e, v196
	v_fma_f32 v196, 0xbe8c1d8e, v156, -v196
	;; [unrolled: 2-line block ×6, first 2 shown]
	v_fmamk_f32 v159, v158, 0x3f06c442, v85
	v_fmac_f32_e32 v85, 0xbf06c442, v158
	v_fmamk_f32 v247, v82, 0x3f7ee86f, v84
	v_fmac_f32_e32 v84, 0xbf7ee86f, v82
	v_add_f32_e32 v87, v147, v160
	v_add_f32_e32 v146, v153, v161
	;; [unrolled: 1-line block ×13, first 2 shown]
	v_mul_f32_e32 v199, 0x3f3d2fb0, v157
	v_mul_f32_e32 v201, 0x3f6eb680, v157
	;; [unrolled: 1-line block ×4, first 2 shown]
	v_fmamk_f32 v239, v158, 0xbf763a35, v197
	v_fmamk_f32 v249, v82, 0x3e3c28d5, v151
	v_fmac_f32_e32 v151, 0xbe3c28d5, v82
	v_add_f32_e32 v176, v225, v211
	v_add_f32_e32 v86, v233, v86
	;; [unrolled: 1-line block ×11, first 2 shown]
	v_fmamk_f32 v85, v83, 0xbe8c1d8e, v150
	v_fmamk_f32 v132, v82, 0xbf763a35, v205
	v_mul_f32_e32 v148, 0x3f6eb680, v144
	v_mul_f32_e32 v204, 0xbe3c28d5, v145
	v_fmac_f32_e32 v195, 0x3e3c28d5, v158
	v_fmac_f32_e32 v197, 0x3f763a35, v158
	v_fmamk_f32 v241, v158, 0xbf2c7751, v199
	v_fmac_f32_e32 v199, 0x3f2c7751, v158
	v_fmamk_f32 v243, v158, 0x3eb8f4ab, v201
	;; [unrolled: 2-line block ×4, first 2 shown]
	v_fma_f32 v157, 0x3dbcf732, v83, -v157
	v_add_f32_e32 v153, v220, v206
	v_add_f32_e32 v165, v180, v166
	;; [unrolled: 1-line block ×12, first 2 shown]
	v_mul_f32_e32 v146, 0x3eb8f4ab, v145
	v_add_f32_e32 v132, v132, v160
	v_mul_f32_e32 v151, 0xbf65296c, v145
	v_fmamk_f32 v152, v82, 0xbeb8f4ab, v148
	v_mul_f32_e32 v155, 0xbf06c442, v145
	v_mul_f32_e32 v160, 0x3f4c4adb, v145
	;; [unrolled: 1-line block ×3, first 2 shown]
	v_fmamk_f32 v248, v83, 0xbf7ba420, v204
	v_add_f32_e32 v166, v181, v167
	v_add_f32_e32 v168, v182, v168
	;; [unrolled: 1-line block ×8, first 2 shown]
	v_fma_f32 v147, 0xbe8c1d8e, v83, -v150
	v_add_f32_e32 v152, v152, v164
	v_fmamk_f32 v164, v83, 0x3f3d2fb0, v145
	v_fma_f32 v204, 0xbf7ba420, v83, -v204
	v_add_f32_e32 v167, v224, v210
	v_add_f32_e32 v162, v195, v166
	;; [unrolled: 1-line block ×4, first 2 shown]
	v_fmac_f32_e32 v205, 0x3f763a35, v82
	v_fmamk_f32 v149, v83, 0x3f6eb680, v146
	v_add_f32_e32 v147, v147, v161
	v_fma_f32 v146, 0x3f6eb680, v83, -v146
	v_mul_f32_e32 v154, 0x3ee437d1, v144
	v_mul_f32_e32 v157, 0xbf59a7d5, v144
	;; [unrolled: 1-line block ×4, first 2 shown]
	v_add_f32_e32 v74, v164, v74
	v_sub_f32_e32 v164, v71, v73
	v_add_f32_e32 v71, v73, v71
	v_add_f32_e32 v163, v238, v167
	;; [unrolled: 1-line block ×6, first 2 shown]
	v_fmamk_f32 v153, v83, 0x3ee437d1, v151
	v_add_f32_e32 v146, v146, v165
	v_fma_f32 v151, 0x3ee437d1, v83, -v151
	v_fmamk_f32 v158, v83, 0xbf59a7d5, v155
	v_fma_f32 v155, 0xbf59a7d5, v83, -v155
	v_fmamk_f32 v162, v83, 0xbf1a4643, v160
	;; [unrolled: 2-line block ×3, first 2 shown]
	v_fma_f32 v83, 0x3f3d2fb0, v83, -v145
	v_add_f32_e32 v73, v72, v70
	v_mul_f32_e32 v145, 0xbf763a35, v164
	v_fmac_f32_e32 v144, 0x3f2c7751, v82
	v_sub_f32_e32 v70, v70, v72
	v_mul_f32_e32 v72, 0xbe8c1d8e, v71
	v_add_f32_e32 v149, v149, v163
	v_fmac_f32_e32 v148, 0x3eb8f4ab, v82
	v_fmamk_f32 v156, v82, 0x3f65296c, v154
	v_fmac_f32_e32 v154, 0xbf65296c, v82
	v_fmamk_f32 v159, v82, 0x3f06c442, v157
	;; [unrolled: 2-line block ×4, first 2 shown]
	v_add_f32_e32 v80, v83, v80
	v_add_f32_e32 v76, v144, v76
	v_fmamk_f32 v83, v70, 0x3f763a35, v72
	v_mul_f32_e32 v144, 0x3f06c442, v164
	v_fmac_f32_e32 v72, 0xbf763a35, v70
	v_add_f32_e32 v77, v82, v77
	v_fma_f32 v82, 0xbe8c1d8e, v73, -v145
	v_add_f32_e32 v81, v83, v81
	v_fmamk_f32 v83, v73, 0xbf59a7d5, v144
	v_mul_f32_e32 v145, 0xbf59a7d5, v71
	v_add_f32_e32 v72, v72, v79
	v_mul_f32_e32 v79, 0x3f2c7751, v164
	v_add_f32_e32 v75, v165, v75
	v_add_f32_e32 v78, v82, v78
	;; [unrolled: 1-line block ×3, first 2 shown]
	v_fmamk_f32 v83, v70, 0xbf06c442, v145
	v_fma_f32 v84, 0xbf59a7d5, v73, -v144
	v_fmac_f32_e32 v145, 0x3f06c442, v70
	v_fmamk_f32 v144, v73, 0x3f3d2fb0, v79
	v_mul_f32_e32 v165, 0x3f3d2fb0, v71
	v_add_f32_e32 v177, v226, v212
	v_add_f32_e32 v83, v83, v86
	;; [unrolled: 1-line block ×5, first 2 shown]
	v_fmamk_f32 v87, v70, 0xbf2c7751, v165
	v_mul_f32_e32 v131, 0xbf65296c, v164
	v_fma_f32 v79, 0x3f3d2fb0, v73, -v79
	v_fmac_f32_e32 v165, 0x3f2c7751, v70
	v_mul_f32_e32 v144, 0x3ee437d1, v71
	v_add_f32_e32 v170, v184, v170
	v_add_f32_e32 v171, v185, v171
	;; [unrolled: 1-line block ×6, first 2 shown]
	v_fmamk_f32 v132, v73, 0x3ee437d1, v131
	v_add_f32_e32 v79, v79, v147
	v_add_f32_e32 v145, v165, v150
	v_fmamk_f32 v147, v70, 0x3f65296c, v144
	v_mul_f32_e32 v150, 0xbe3c28d5, v164
	v_fma_f32 v131, 0x3ee437d1, v73, -v131
	v_add_f32_e32 v178, v227, v213
	v_add_f32_e32 v180, v229, v215
	v_add_f32_e32 v169, v198, v170
	v_add_f32_e32 v170, v199, v171
	v_add_f32_e32 v171, v242, v179
	v_add_f32_e32 v148, v148, v166
	v_add_f32_e32 v153, v153, v167
	v_add_f32_e32 v132, v132, v149
	v_fmac_f32_e32 v144, 0xbf65296c, v70
	v_add_f32_e32 v147, v147, v152
	v_fmamk_f32 v149, v73, 0xbf7ba420, v150
	v_mul_f32_e32 v152, 0xbf7ba420, v71
	v_add_f32_e32 v131, v131, v146
	v_mul_f32_e32 v146, 0x3f7ee86f, v164
	v_add_f32_e32 v172, v186, v172
	v_add_f32_e32 v181, v230, v216
	;; [unrolled: 1-line block ×10, first 2 shown]
	v_fmamk_f32 v149, v70, 0x3e3c28d5, v152
	v_fma_f32 v150, 0xbf7ba420, v73, -v150
	v_fmac_f32_e32 v152, 0xbe3c28d5, v70
	v_fmamk_f32 v153, v73, 0x3dbcf732, v146
	v_mul_f32_e32 v165, 0x3dbcf732, v71
	v_add_f32_e32 v182, v231, v217
	v_add_f32_e32 v172, v200, v172
	;; [unrolled: 1-line block ×9, first 2 shown]
	v_fmamk_f32 v153, v70, 0xbf7ee86f, v165
	v_mul_f32_e32 v154, 0xbeb8f4ab, v164
	v_add_f32_e32 v175, v189, v175
	v_add_f32_e32 v178, v245, v182
	;; [unrolled: 1-line block ×6, first 2 shown]
	v_fma_f32 v146, 0x3dbcf732, v73, -v146
	v_mul_f32_e32 v156, 0x3f6eb680, v71
	v_add_f32_e32 v153, v153, v159
	v_fmamk_f32 v158, v73, 0x3f6eb680, v154
	v_mul_f32_e32 v159, 0xbf4c4adb, v164
	v_fma_f32 v154, 0x3f6eb680, v73, -v154
	v_add_f32_e32 v175, v203, v175
	v_add_f32_e32 v163, v163, v178
	;; [unrolled: 1-line block ×3, first 2 shown]
	v_fmamk_f32 v155, v70, 0x3eb8f4ab, v156
	v_add_f32_e32 v158, v158, v162
	v_fmamk_f32 v162, v73, 0xbf1a4643, v159
	v_add_f32_e32 v154, v154, v160
	v_sub_f32_e32 v160, v61, v67
	v_add_f32_e32 v161, v161, v175
	v_add_f32_e32 v155, v155, v163
	v_fmac_f32_e32 v156, 0xbeb8f4ab, v70
	v_mul_f32_e32 v71, 0xbf1a4643, v71
	v_add_f32_e32 v74, v162, v74
	v_add_f32_e32 v162, v66, v60
	v_mul_f32_e32 v163, 0xbf4c4adb, v160
	v_add_f32_e32 v61, v67, v61
	v_fmac_f32_e32 v165, 0x3f7ee86f, v70
	v_add_f32_e32 v156, v156, v161
	v_fmamk_f32 v161, v70, 0x3f4c4adb, v71
	v_fma_f32 v67, 0xbf1a4643, v73, -v159
	v_fmac_f32_e32 v71, 0xbf4c4adb, v70
	v_sub_f32_e32 v60, v60, v66
	v_fmamk_f32 v66, v162, 0xbf1a4643, v163
	v_mul_f32_e32 v70, 0xbf1a4643, v61
	v_add_f32_e32 v73, v161, v75
	v_add_f32_e32 v67, v67, v80
	;; [unrolled: 1-line block ×4, first 2 shown]
	v_fmamk_f32 v75, v60, 0x3f4c4adb, v70
	v_mul_f32_e32 v76, 0x3f763a35, v160
	v_fma_f32 v77, 0xbf1a4643, v162, -v163
	v_fmac_f32_e32 v70, 0xbf4c4adb, v60
	v_mul_f32_e32 v80, 0xbe8c1d8e, v61
	v_add_f32_e32 v75, v75, v81
	v_fmamk_f32 v81, v162, 0xbe8c1d8e, v76
	v_add_f32_e32 v77, v77, v78
	v_add_f32_e32 v70, v70, v72
	v_fmamk_f32 v72, v60, 0xbf763a35, v80
	v_mul_f32_e32 v78, 0xbeb8f4ab, v160
	v_fma_f32 v76, 0xbe8c1d8e, v162, -v76
	v_add_f32_e32 v81, v81, v82
	v_fmac_f32_e32 v80, 0x3f763a35, v60
	v_add_f32_e32 v72, v72, v83
	v_fmamk_f32 v82, v162, 0x3f6eb680, v78
	v_mul_f32_e32 v83, 0x3f6eb680, v61
	v_add_f32_e32 v76, v76, v84
	v_mul_f32_e32 v84, 0xbf06c442, v160
	v_add_f32_e32 v80, v80, v86
	v_add_f32_e32 v82, v82, v85
	v_fmamk_f32 v85, v60, 0x3eb8f4ab, v83
	v_fma_f32 v78, 0x3f6eb680, v162, -v78
	v_fmac_f32_e32 v83, 0xbeb8f4ab, v60
	v_fmamk_f32 v86, v162, 0xbf59a7d5, v84
	v_mul_f32_e32 v159, 0xbf59a7d5, v61
	v_add_f32_e32 v173, v187, v173
	v_add_f32_e32 v85, v85, v87
	;; [unrolled: 1-line block ×5, first 2 shown]
	v_fmamk_f32 v86, v60, 0x3f06c442, v159
	v_mul_f32_e32 v87, 0x3f7ee86f, v160
	v_fma_f32 v84, 0xbf59a7d5, v162, -v84
	v_fmac_f32_e32 v159, 0xbf06c442, v60
	v_mul_f32_e32 v132, 0x3dbcf732, v61
	v_add_f32_e32 v173, v201, v173
	v_add_f32_e32 v86, v86, v147
	v_fmamk_f32 v145, v162, 0x3dbcf732, v87
	v_add_f32_e32 v84, v84, v131
	v_add_f32_e32 v131, v159, v144
	v_fmamk_f32 v144, v60, 0xbf7ee86f, v132
	v_mul_f32_e32 v147, 0xbf2c7751, v160
	v_fma_f32 v87, 0x3dbcf732, v162, -v87
	v_add_f32_e32 v157, v157, v173
	v_add_f32_e32 v145, v145, v148
	v_fmac_f32_e32 v132, 0x3f7ee86f, v60
	v_add_f32_e32 v144, v144, v149
	v_fmamk_f32 v148, v162, 0x3f3d2fb0, v147
	v_mul_f32_e32 v149, 0x3f3d2fb0, v61
	v_add_f32_e32 v87, v87, v150
	v_mul_f32_e32 v150, 0xbe3c28d5, v160
	v_add_f32_e32 v157, v165, v157
	v_add_f32_e32 v132, v132, v151
	v_add_f32_e32 v148, v148, v152
	v_fmamk_f32 v151, v60, 0x3f2c7751, v149
	v_fma_f32 v147, 0x3f3d2fb0, v162, -v147
	v_fmac_f32_e32 v149, 0xbf2c7751, v60
	v_fmamk_f32 v152, v162, 0xbf7ba420, v150
	v_mul_f32_e32 v159, 0xbf7ba420, v61
	v_add_f32_e32 v151, v151, v153
	v_add_f32_e32 v146, v147, v146
	;; [unrolled: 1-line block ×4, first 2 shown]
	v_fmamk_f32 v152, v60, 0x3e3c28d5, v159
	v_mul_f32_e32 v153, 0x3f65296c, v160
	v_fma_f32 v150, 0xbf7ba420, v162, -v150
	v_fmac_f32_e32 v159, 0xbe3c28d5, v60
	v_mul_f32_e32 v61, 0x3ee437d1, v61
	v_add_f32_e32 v152, v152, v155
	v_fmamk_f32 v155, v162, 0x3ee437d1, v153
	v_add_f32_e32 v150, v150, v154
	v_add_f32_e32 v154, v159, v156
	v_sub_f32_e32 v156, v63, v65
	v_add_f32_e32 v63, v65, v63
	v_fmamk_f32 v157, v60, 0xbf65296c, v61
	v_add_f32_e32 v74, v155, v74
	v_add_f32_e32 v155, v64, v62
	v_mul_f32_e32 v65, 0xbf06c442, v156
	v_fma_f32 v153, 0x3ee437d1, v162, -v153
	v_fmac_f32_e32 v61, 0x3f65296c, v60
	v_sub_f32_e32 v60, v62, v64
	v_mul_f32_e32 v62, 0xbf59a7d5, v63
	v_fmamk_f32 v64, v155, 0xbf59a7d5, v65
	v_add_f32_e32 v67, v153, v67
	v_add_f32_e32 v61, v61, v71
	v_mul_f32_e32 v71, 0x3f65296c, v156
	v_fmamk_f32 v153, v60, 0x3f06c442, v62
	v_add_f32_e32 v64, v64, v66
	v_fma_f32 v65, 0xbf59a7d5, v155, -v65
	v_fmac_f32_e32 v62, 0xbf06c442, v60
	v_fmamk_f32 v66, v155, 0x3ee437d1, v71
	v_add_f32_e32 v75, v153, v75
	v_mul_f32_e32 v153, 0x3ee437d1, v63
	v_add_f32_e32 v65, v65, v77
	v_add_f32_e32 v62, v62, v70
	;; [unrolled: 1-line block ×3, first 2 shown]
	v_mul_f32_e32 v70, 0xbf7ee86f, v156
	v_fmamk_f32 v77, v60, 0xbf65296c, v153
	v_mul_f32_e32 v81, 0x3dbcf732, v63
	v_add_f32_e32 v73, v157, v73
	v_fma_f32 v71, 0x3ee437d1, v155, -v71
	v_fmac_f32_e32 v153, 0x3f65296c, v60
	v_fmamk_f32 v157, v155, 0x3dbcf732, v70
	v_add_f32_e32 v72, v77, v72
	v_fmamk_f32 v77, v60, 0x3f7ee86f, v81
	v_add_f32_e32 v71, v71, v76
	v_add_f32_e32 v76, v153, v80
	;; [unrolled: 1-line block ×3, first 2 shown]
	v_mul_f32_e32 v82, 0x3f4c4adb, v156
	v_fma_f32 v70, 0x3dbcf732, v155, -v70
	v_fmac_f32_e32 v81, 0xbf7ee86f, v60
	v_add_f32_e32 v77, v77, v85
	v_mul_f32_e32 v85, 0xbf1a4643, v63
	v_fmamk_f32 v153, v155, 0xbf1a4643, v82
	v_add_f32_e32 v70, v70, v78
	v_add_f32_e32 v78, v81, v79
	v_mul_f32_e32 v79, 0xbeb8f4ab, v156
	v_fmamk_f32 v81, v60, 0xbf4c4adb, v85
	v_add_f32_e32 v83, v153, v83
	v_fma_f32 v82, 0xbf1a4643, v155, -v82
	v_fmac_f32_e32 v85, 0x3f4c4adb, v60
	v_fmamk_f32 v153, v155, 0x3f6eb680, v79
	v_add_f32_e32 v81, v81, v86
	v_mul_f32_e32 v86, 0x3f6eb680, v63
	v_add_f32_e32 v82, v82, v84
	v_add_f32_e32 v84, v85, v131
	;; [unrolled: 1-line block ×3, first 2 shown]
	v_mul_f32_e32 v131, 0xbe3c28d5, v156
	v_fmamk_f32 v145, v60, 0x3eb8f4ab, v86
	v_fma_f32 v79, 0x3f6eb680, v155, -v79
	v_mul_f32_e32 v153, 0xbf7ba420, v63
	v_fmac_f32_e32 v86, 0xbeb8f4ab, v60
	v_fmamk_f32 v157, v155, 0xbf7ba420, v131
	v_add_f32_e32 v144, v145, v144
	v_add_f32_e32 v79, v79, v87
	v_fmamk_f32 v87, v60, 0x3e3c28d5, v153
	v_mul_f32_e32 v145, 0x3f2c7751, v156
	v_fma_f32 v131, 0xbf7ba420, v155, -v131
	v_fmac_f32_e32 v153, 0xbe3c28d5, v60
	v_add_f32_e32 v86, v86, v132
	v_add_f32_e32 v87, v87, v151
	v_fmamk_f32 v151, v155, 0x3f3d2fb0, v145
	v_add_f32_e32 v131, v131, v146
	v_add_f32_e32 v146, v153, v147
	v_mul_f32_e32 v147, 0xbf763a35, v156
	v_add_f32_e32 v132, v157, v148
	v_mul_f32_e32 v148, 0x3f3d2fb0, v63
	v_add_f32_e32 v149, v151, v149
	v_fma_f32 v145, 0x3f3d2fb0, v155, -v145
	v_fmamk_f32 v151, v155, 0xbe8c1d8e, v147
	v_mul_f32_e32 v63, 0xbe8c1d8e, v63
	v_fmamk_f32 v153, v60, 0xbf2c7751, v148
	v_fmac_f32_e32 v148, 0x3f2c7751, v60
	v_add_f32_e32 v145, v145, v150
	v_add_f32_e32 v150, v151, v74
	v_sub_f32_e32 v151, v57, v59
	v_add_f32_e32 v152, v153, v152
	v_add_f32_e32 v148, v148, v154
	v_fmamk_f32 v74, v60, 0x3f763a35, v63
	v_add_f32_e32 v153, v59, v57
	v_add_f32_e32 v154, v58, v56
	v_mul_f32_e32 v57, 0xbe3c28d5, v151
	v_fmac_f32_e32 v63, 0xbf763a35, v60
	v_fma_f32 v147, 0xbe8c1d8e, v155, -v147
	v_sub_f32_e32 v155, v56, v58
	v_mul_f32_e32 v59, 0xbf7ba420, v153
	v_fmamk_f32 v56, v154, 0xbf7ba420, v57
	v_add_f32_e32 v157, v63, v61
	v_mul_f32_e32 v61, 0x3eb8f4ab, v151
	v_fma_f32 v60, 0xbf7ba420, v154, -v57
	v_fmamk_f32 v58, v155, 0x3e3c28d5, v59
	v_add_f32_e32 v56, v56, v64
	v_fmac_f32_e32 v59, 0xbe3c28d5, v155
	v_fmamk_f32 v63, v154, 0x3f6eb680, v61
	v_mul_f32_e32 v64, 0x3f6eb680, v153
	v_add_f32_e32 v57, v58, v75
	v_add_f32_e32 v58, v60, v65
	;; [unrolled: 1-line block ×3, first 2 shown]
	v_mul_f32_e32 v65, 0xbf06c442, v151
	v_add_f32_e32 v60, v63, v66
	v_fmamk_f32 v62, v155, 0xbeb8f4ab, v64
	v_fma_f32 v63, 0x3f6eb680, v154, -v61
	v_add_f32_e32 v147, v147, v67
	v_fmac_f32_e32 v64, 0x3eb8f4ab, v155
	v_fmamk_f32 v66, v154, 0xbf59a7d5, v65
	v_mul_f32_e32 v67, 0xbf59a7d5, v153
	v_add_f32_e32 v61, v62, v72
	v_add_f32_e32 v62, v63, v71
	v_mul_f32_e32 v71, 0x3f2c7751, v151
	v_add_f32_e32 v156, v74, v73
	v_add_f32_e32 v63, v64, v76
	;; [unrolled: 1-line block ×3, first 2 shown]
	v_fmamk_f32 v66, v155, 0x3f06c442, v67
	v_fma_f32 v72, 0xbf59a7d5, v154, -v65
	v_mul_f32_e32 v73, 0x3f3d2fb0, v153
	v_fmamk_f32 v74, v154, 0x3f3d2fb0, v71
	v_mul_f32_e32 v75, 0xbf4c4adb, v151
	v_fmac_f32_e32 v67, 0xbf06c442, v155
	v_add_f32_e32 v65, v66, v77
	v_add_f32_e32 v66, v72, v70
	v_fmamk_f32 v72, v155, 0xbf2c7751, v73
	v_add_f32_e32 v70, v74, v83
	v_fma_f32 v74, 0x3f3d2fb0, v154, -v71
	v_fmamk_f32 v76, v154, 0xbf1a4643, v75
	v_mul_f32_e32 v77, 0xbf1a4643, v153
	v_add_f32_e32 v67, v67, v78
	v_add_f32_e32 v71, v72, v81
	;; [unrolled: 1-line block ×3, first 2 shown]
	v_mul_f32_e32 v80, 0x3f65296c, v151
	v_add_f32_e32 v74, v76, v85
	v_fmamk_f32 v76, v155, 0x3f4c4adb, v77
	v_fma_f32 v78, 0xbf1a4643, v154, -v75
	v_mul_f32_e32 v82, 0x3ee437d1, v153
	v_fmac_f32_e32 v73, 0x3f2c7751, v155
	v_fmac_f32_e32 v77, 0xbf4c4adb, v155
	v_fmamk_f32 v81, v154, 0x3ee437d1, v80
	v_add_f32_e32 v75, v76, v144
	v_add_f32_e32 v76, v78, v79
	v_fmamk_f32 v79, v155, 0xbf65296c, v82
	v_mul_f32_e32 v83, 0xbf763a35, v151
	v_fma_f32 v80, 0x3ee437d1, v154, -v80
	v_mul_f32_e32 v85, 0xbe8c1d8e, v153
	v_add_f32_e32 v73, v73, v84
	v_add_f32_e32 v77, v77, v86
	;; [unrolled: 1-line block ×3, first 2 shown]
	v_fmac_f32_e32 v82, 0x3f65296c, v155
	v_add_f32_e32 v79, v79, v87
	v_fmamk_f32 v84, v154, 0xbe8c1d8e, v83
	v_add_f32_e32 v80, v80, v131
	v_fmamk_f32 v86, v155, 0x3f763a35, v85
	v_fma_f32 v87, 0xbe8c1d8e, v154, -v83
	v_mul_f32_e32 v131, 0x3f7ee86f, v151
	v_mul_f32_e32 v132, 0x3dbcf732, v153
	v_add_f32_e32 v81, v82, v146
	v_add_f32_e32 v82, v84, v149
	;; [unrolled: 1-line block ×4, first 2 shown]
	v_fmamk_f32 v86, v154, 0x3dbcf732, v131
	v_fmamk_f32 v87, v155, 0xbf7ee86f, v132
	v_fma_f32 v131, 0x3dbcf732, v154, -v131
	v_fmac_f32_e32 v132, 0x3f7ee86f, v155
	v_fmac_f32_e32 v85, 0xbf763a35, v155
	v_add_f32_e32 v86, v86, v150
	v_add_f32_e32 v87, v87, v156
	;; [unrolled: 1-line block ×5, first 2 shown]
	ds_write2_b64 v140, v[68:69], v[56:57] offset1:1
	ds_write2_b64 v140, v[60:61], v[64:65] offset0:2 offset1:3
	ds_write2_b64 v140, v[70:71], v[74:75] offset0:4 offset1:5
	;; [unrolled: 1-line block ×7, first 2 shown]
	ds_write_b64 v140, v[58:59] offset:128
	s_waitcnt lgkmcnt(0)
	s_barrier
	buffer_gl0_inv
	ds_read2_b64 v[56:59], v135 offset1:102
	ds_read2_b64 v[60:63], v143 offset0:76 offset1:178
	ds_read2_b64 v[64:67], v133 offset0:152 offset1:254
	;; [unrolled: 1-line block ×7, first 2 shown]
	ds_read_b64 v[131:132], v135 offset:13056
	s_waitcnt lgkmcnt(0)
	s_barrier
	buffer_gl0_inv
	v_mul_f32_e32 v140, v29, v59
	v_mul_f32_e32 v29, v29, v58
	v_fmac_f32_e32 v140, v28, v58
	v_mul_f32_e32 v58, v31, v61
	v_mul_f32_e32 v31, v31, v60
	v_fma_f32 v29, v28, v59, -v29
	v_mul_f32_e32 v59, v21, v63
	v_mul_f32_e32 v21, v21, v62
	v_fmac_f32_e32 v58, v30, v60
	v_fma_f32 v30, v30, v61, -v31
	v_mul_f32_e32 v28, v23, v65
	v_mul_f32_e32 v23, v23, v64
	v_fma_f32 v31, v20, v63, -v21
	v_mul_f32_e32 v21, v17, v67
	v_mul_f32_e32 v17, v17, v66
	v_fmac_f32_e32 v59, v20, v62
	v_fmac_f32_e32 v28, v22, v64
	v_mul_f32_e32 v20, v19, v69
	v_fma_f32 v23, v22, v65, -v23
	v_mul_f32_e32 v19, v19, v68
	v_fma_f32 v22, v16, v67, -v17
	v_mul_f32_e32 v17, v1, v71
	v_mul_f32_e32 v1, v1, v70
	v_add_f32_e32 v61, v57, v29
	v_fmac_f32_e32 v20, v18, v68
	v_fma_f32 v19, v18, v69, -v19
	v_add_f32_e32 v60, v56, v140
	v_fma_f32 v18, v0, v71, -v1
	v_add_f32_e32 v1, v61, v30
	v_fmac_f32_e32 v17, v0, v70
	v_fmac_f32_e32 v21, v16, v66
	v_add_f32_e32 v0, v60, v58
	v_mul_f32_e32 v16, v3, v73
	v_add_f32_e32 v1, v1, v31
	v_mul_f32_e32 v60, v3, v72
	v_mul_f32_e32 v3, v13, v75
	v_add_f32_e32 v0, v0, v59
	v_fmac_f32_e32 v16, v2, v72
	v_add_f32_e32 v1, v1, v23
	v_fma_f32 v2, v2, v73, -v60
	v_mul_f32_e32 v60, v13, v74
	v_add_f32_e32 v0, v0, v28
	v_fmac_f32_e32 v3, v12, v74
	v_add_f32_e32 v1, v1, v22
	v_mul_f32_e32 v13, v15, v77
	v_mul_f32_e32 v15, v15, v76
	v_add_f32_e32 v0, v0, v21
	v_fma_f32 v12, v12, v75, -v60
	v_add_f32_e32 v1, v1, v19
	v_fmac_f32_e32 v13, v14, v76
	v_fma_f32 v14, v14, v77, -v15
	v_add_f32_e32 v0, v0, v20
	v_mul_f32_e32 v15, v9, v79
	v_add_f32_e32 v1, v1, v18
	v_mul_f32_e32 v60, v9, v78
	v_mul_f32_e32 v9, v11, v81
	v_add_f32_e32 v0, v0, v17
	v_fmac_f32_e32 v15, v8, v78
	v_add_f32_e32 v1, v1, v2
	v_fma_f32 v8, v8, v79, -v60
	v_mul_f32_e32 v11, v11, v80
	v_add_f32_e32 v0, v0, v16
	v_mul_f32_e32 v60, v5, v83
	v_add_f32_e32 v1, v1, v12
	v_mul_f32_e32 v61, v5, v82
	v_fma_f32 v5, v10, v81, -v11
	v_add_f32_e32 v0, v0, v3
	v_fmac_f32_e32 v9, v10, v80
	v_add_f32_e32 v1, v1, v14
	v_fmac_f32_e32 v60, v4, v82
	v_fma_f32 v4, v4, v83, -v61
	v_add_f32_e32 v0, v0, v13
	v_mul_f32_e32 v10, v7, v85
	v_add_f32_e32 v1, v1, v8
	v_mul_f32_e32 v7, v7, v84
	v_mul_f32_e32 v11, v25, v87
	v_add_f32_e32 v0, v0, v15
	v_fmac_f32_e32 v10, v6, v84
	v_add_f32_e32 v1, v1, v5
	v_fma_f32 v6, v6, v85, -v7
	v_mul_f32_e32 v7, v27, v131
	v_add_f32_e32 v0, v0, v9
	v_mul_f32_e32 v25, v25, v86
	v_add_f32_e32 v1, v1, v4
	v_fmac_f32_e32 v11, v24, v86
	v_mul_f32_e32 v27, v27, v132
	v_fma_f32 v7, v26, v132, -v7
	v_add_f32_e32 v0, v0, v60
	v_fma_f32 v24, v24, v87, -v25
	v_add_f32_e32 v1, v1, v6
	v_fmac_f32_e32 v27, v26, v131
	v_sub_f32_e32 v25, v29, v7
	v_add_f32_e32 v0, v0, v10
	v_add_f32_e32 v29, v29, v7
	;; [unrolled: 1-line block ×4, first 2 shown]
	v_mul_f32_e32 v61, 0xbeb8f4ab, v25
	v_add_f32_e32 v0, v0, v11
	v_sub_f32_e32 v62, v140, v27
	v_mul_f32_e32 v63, 0x3f6eb680, v29
	v_add_f32_e32 v1, v1, v7
	v_mul_f32_e32 v7, 0xbf2c7751, v25
	v_mul_f32_e32 v66, 0x3f3d2fb0, v29
	;; [unrolled: 1-line block ×14, first 2 shown]
	v_sub_f32_e32 v132, v30, v24
	v_add_f32_e32 v24, v30, v24
	v_fmamk_f32 v64, v26, 0x3f6eb680, v61
	v_add_f32_e32 v0, v0, v27
	v_fmamk_f32 v27, v62, 0x3eb8f4ab, v63
	v_fma_f32 v61, 0x3f6eb680, v26, -v61
	v_fmac_f32_e32 v63, 0xbeb8f4ab, v62
	v_fmamk_f32 v65, v26, 0x3f3d2fb0, v7
	v_fmamk_f32 v68, v62, 0x3f2c7751, v66
	v_fma_f32 v7, 0x3f3d2fb0, v26, -v7
	v_fmac_f32_e32 v66, 0xbf2c7751, v62
	v_fmamk_f32 v70, v26, 0x3ee437d1, v67
	;; [unrolled: 4-line block ×7, first 2 shown]
	v_fmamk_f32 v138, v62, 0x3e3c28d5, v29
	v_fma_f32 v25, 0xbf7ba420, v26, -v25
	v_add_f32_e32 v26, v58, v11
	v_mul_f32_e32 v30, 0xbf2c7751, v132
	v_fmac_f32_e32 v29, 0xbe3c28d5, v62
	v_sub_f32_e32 v11, v58, v11
	v_mul_f32_e32 v58, 0x3f3d2fb0, v24
	v_add_f32_e32 v64, v56, v64
	v_add_f32_e32 v27, v57, v27
	;; [unrolled: 1-line block ×30, first 2 shown]
	v_fmamk_f32 v138, v26, 0x3f3d2fb0, v30
	v_add_f32_e32 v25, v56, v25
	v_add_f32_e32 v29, v57, v29
	v_fmamk_f32 v56, v11, 0x3f2c7751, v58
	v_mul_f32_e32 v57, 0xbf7ee86f, v132
	v_fma_f32 v30, 0x3f3d2fb0, v26, -v30
	v_add_f32_e32 v64, v138, v64
	v_fmac_f32_e32 v58, 0xbf2c7751, v11
	v_add_f32_e32 v27, v56, v27
	v_fmamk_f32 v56, v26, 0x3dbcf732, v57
	v_mul_f32_e32 v138, 0x3dbcf732, v24
	v_add_f32_e32 v30, v30, v61
	v_mul_f32_e32 v61, 0xbf4c4adb, v132
	v_add_f32_e32 v58, v58, v63
	v_add_f32_e32 v56, v56, v65
	v_fmamk_f32 v63, v11, 0x3f7ee86f, v138
	v_fma_f32 v57, 0x3dbcf732, v26, -v57
	v_fmac_f32_e32 v138, 0xbf7ee86f, v11
	v_fmamk_f32 v65, v26, 0xbf1a4643, v61
	v_mul_f32_e32 v140, 0xbf1a4643, v24
	v_add_f32_e32 v63, v63, v68
	v_add_f32_e32 v7, v57, v7
	;; [unrolled: 1-line block ×4, first 2 shown]
	v_fmamk_f32 v66, v11, 0x3f4c4adb, v140
	v_mul_f32_e32 v68, 0xbe3c28d5, v132
	v_fma_f32 v61, 0xbf1a4643, v26, -v61
	v_fmac_f32_e32 v140, 0xbf4c4adb, v11
	v_mul_f32_e32 v70, 0xbf7ba420, v24
	v_add_f32_e32 v66, v66, v71
	v_fmamk_f32 v71, v26, 0xbf7ba420, v68
	v_add_f32_e32 v61, v61, v67
	v_add_f32_e32 v67, v140, v69
	v_fmamk_f32 v69, v11, 0x3e3c28d5, v70
	v_mul_f32_e32 v138, 0x3f06c442, v132
	v_add_f32_e32 v71, v71, v74
	v_fma_f32 v68, 0xbf7ba420, v26, -v68
	v_fmac_f32_e32 v70, 0xbe3c28d5, v11
	v_add_f32_e32 v69, v69, v76
	v_fmamk_f32 v74, v26, 0xbf59a7d5, v138
	v_mul_f32_e32 v76, 0xbf59a7d5, v24
	v_add_f32_e32 v68, v68, v72
	v_add_f32_e32 v70, v70, v73
	v_mul_f32_e32 v72, 0x3f763a35, v132
	v_add_f32_e32 v73, v74, v77
	v_fmamk_f32 v74, v11, 0xbf06c442, v76
	v_fmac_f32_e32 v76, 0x3f06c442, v11
	v_mul_f32_e32 v140, 0xbe8c1d8e, v24
	v_fma_f32 v77, 0xbf59a7d5, v26, -v138
	v_fmamk_f32 v138, v26, 0xbe8c1d8e, v72
	v_add_f32_e32 v74, v74, v80
	v_add_f32_e32 v76, v76, v78
	v_fmamk_f32 v78, v11, 0xbf763a35, v140
	v_mul_f32_e32 v80, 0x3f65296c, v132
	v_add_f32_e32 v75, v77, v75
	v_add_f32_e32 v77, v138, v82
	v_fma_f32 v72, 0xbe8c1d8e, v26, -v72
	v_mul_f32_e32 v82, 0x3ee437d1, v24
	v_add_f32_e32 v78, v78, v83
	v_fmamk_f32 v83, v26, 0x3ee437d1, v80
	v_mul_f32_e32 v132, 0x3eb8f4ab, v132
	v_fma_f32 v80, 0x3ee437d1, v26, -v80
	v_add_f32_e32 v72, v72, v79
	v_fmamk_f32 v79, v11, 0xbf65296c, v82
	v_add_f32_e32 v83, v83, v86
	v_fmac_f32_e32 v82, 0x3f65296c, v11
	v_fmamk_f32 v86, v26, 0x3f6eb680, v132
	v_add_f32_e32 v80, v80, v84
	v_sub_f32_e32 v84, v31, v6
	v_add_f32_e32 v79, v79, v87
	v_mul_f32_e32 v24, 0x3f6eb680, v24
	v_add_f32_e32 v82, v82, v85
	v_add_f32_e32 v85, v86, v131
	;; [unrolled: 1-line block ×3, first 2 shown]
	v_mul_f32_e32 v131, 0xbf65296c, v84
	v_add_f32_e32 v6, v31, v6
	v_fmac_f32_e32 v140, 0x3f763a35, v11
	v_fmamk_f32 v86, v11, 0xbeb8f4ab, v24
	v_fma_f32 v26, 0x3f6eb680, v26, -v132
	v_fmac_f32_e32 v24, 0x3eb8f4ab, v11
	v_sub_f32_e32 v10, v59, v10
	v_fmamk_f32 v11, v87, 0x3ee437d1, v131
	v_mul_f32_e32 v31, 0x3ee437d1, v6
	v_add_f32_e32 v59, v86, v62
	v_add_f32_e32 v25, v26, v25
	;; [unrolled: 1-line block ×4, first 2 shown]
	v_fmamk_f32 v26, v10, 0x3f65296c, v31
	v_mul_f32_e32 v29, 0xbf4c4adb, v84
	v_fma_f32 v62, 0x3ee437d1, v87, -v131
	v_fmac_f32_e32 v31, 0xbf65296c, v10
	v_mul_f32_e32 v64, 0xbf1a4643, v6
	v_add_f32_e32 v26, v26, v27
	v_fmamk_f32 v27, v87, 0xbf1a4643, v29
	v_add_f32_e32 v30, v62, v30
	v_add_f32_e32 v31, v31, v58
	v_fmamk_f32 v58, v10, 0x3f4c4adb, v64
	v_mul_f32_e32 v62, 0x3e3c28d5, v84
	v_fma_f32 v29, 0xbf1a4643, v87, -v29
	v_fmac_f32_e32 v64, 0xbf4c4adb, v10
	v_add_f32_e32 v27, v27, v56
	v_add_f32_e32 v56, v58, v63
	v_fmamk_f32 v58, v87, 0xbf7ba420, v62
	v_mul_f32_e32 v63, 0xbf7ba420, v6
	v_add_f32_e32 v7, v29, v7
	v_add_f32_e32 v29, v64, v57
	v_mul_f32_e32 v57, 0x3f763a35, v84
	v_add_f32_e32 v58, v58, v65
	v_fmamk_f32 v64, v10, 0xbe3c28d5, v63
	v_fma_f32 v62, 0xbf7ba420, v87, -v62
	v_fmac_f32_e32 v63, 0x3e3c28d5, v10
	v_fmamk_f32 v65, v87, 0xbe8c1d8e, v57
	v_mul_f32_e32 v86, 0xbe8c1d8e, v6
	v_add_f32_e32 v64, v64, v66
	v_add_f32_e32 v61, v62, v61
	;; [unrolled: 1-line block ×4, first 2 shown]
	v_fmamk_f32 v65, v10, 0xbf763a35, v86
	v_mul_f32_e32 v66, 0x3f2c7751, v84
	v_fma_f32 v57, 0xbe8c1d8e, v87, -v57
	v_fmac_f32_e32 v86, 0x3f763a35, v10
	v_mul_f32_e32 v67, 0x3f3d2fb0, v6
	v_add_f32_e32 v65, v65, v69
	v_fmamk_f32 v69, v87, 0x3f3d2fb0, v66
	v_add_f32_e32 v57, v57, v68
	v_add_f32_e32 v68, v86, v70
	v_fmamk_f32 v70, v10, 0xbf2c7751, v67
	v_mul_f32_e32 v71, 0xbeb8f4ab, v84
	v_fma_f32 v66, 0x3f3d2fb0, v87, -v66
	v_add_f32_e32 v69, v69, v73
	v_fmac_f32_e32 v67, 0x3f2c7751, v10
	v_add_f32_e32 v70, v70, v74
	v_fmamk_f32 v73, v87, 0x3f6eb680, v71
	v_mul_f32_e32 v74, 0x3f6eb680, v6
	v_add_f32_e32 v66, v66, v75
	v_mul_f32_e32 v75, 0xbf7ee86f, v84
	v_add_f32_e32 v81, v140, v81
	v_add_f32_e32 v67, v67, v76
	;; [unrolled: 1-line block ×3, first 2 shown]
	v_fmamk_f32 v76, v10, 0x3eb8f4ab, v74
	v_fma_f32 v71, 0x3f6eb680, v87, -v71
	v_fmac_f32_e32 v74, 0xbeb8f4ab, v10
	v_fmamk_f32 v77, v87, 0x3dbcf732, v75
	v_mul_f32_e32 v86, 0x3dbcf732, v6
	v_mul_f32_e32 v6, 0xbf59a7d5, v6
	v_add_f32_e32 v71, v71, v72
	v_add_f32_e32 v72, v74, v81
	;; [unrolled: 1-line block ×3, first 2 shown]
	v_fmamk_f32 v77, v10, 0x3f7ee86f, v86
	v_fma_f32 v75, 0x3dbcf732, v87, -v75
	v_fmac_f32_e32 v86, 0xbf7ee86f, v10
	v_add_f32_e32 v76, v76, v78
	v_mul_f32_e32 v78, 0xbf06c442, v84
	v_fmamk_f32 v81, v10, 0x3f06c442, v6
	v_add_f32_e32 v75, v75, v80
	v_add_f32_e32 v80, v86, v82
	v_sub_f32_e32 v82, v23, v4
	v_add_f32_e32 v4, v23, v4
	v_add_f32_e32 v77, v77, v79
	v_fmamk_f32 v79, v87, 0xbf59a7d5, v78
	v_add_f32_e32 v59, v81, v59
	v_add_f32_e32 v81, v28, v60
	v_mul_f32_e32 v23, 0xbf7ee86f, v82
	v_fma_f32 v78, 0xbf59a7d5, v87, -v78
	v_fmac_f32_e32 v6, 0xbf06c442, v10
	v_sub_f32_e32 v10, v28, v60
	v_mul_f32_e32 v28, 0x3dbcf732, v4
	v_fmamk_f32 v60, v81, 0x3dbcf732, v23
	v_add_f32_e32 v25, v78, v25
	v_add_f32_e32 v6, v6, v24
	v_mul_f32_e32 v24, 0xbe3c28d5, v82
	v_fmamk_f32 v78, v10, 0x3f7ee86f, v28
	v_add_f32_e32 v11, v60, v11
	v_fma_f32 v23, 0x3dbcf732, v81, -v23
	v_fmac_f32_e32 v28, 0xbf7ee86f, v10
	v_fmamk_f32 v60, v81, 0xbf7ba420, v24
	v_add_f32_e32 v26, v78, v26
	v_mul_f32_e32 v78, 0xbf7ba420, v4
	v_add_f32_e32 v23, v23, v30
	v_add_f32_e32 v28, v28, v31
	v_add_f32_e32 v27, v60, v27
	v_mul_f32_e32 v30, 0x3f763a35, v82
	v_fmamk_f32 v31, v10, 0x3e3c28d5, v78
	v_fma_f32 v24, 0xbf7ba420, v81, -v24
	v_fmac_f32_e32 v78, 0xbe3c28d5, v10
	v_mul_f32_e32 v60, 0xbe8c1d8e, v4
	v_fmamk_f32 v83, v81, 0xbe8c1d8e, v30
	v_add_f32_e32 v31, v31, v56
	v_add_f32_e32 v7, v24, v7
	v_add_f32_e32 v24, v78, v29
	v_fmamk_f32 v29, v10, 0xbf763a35, v60
	v_add_f32_e32 v56, v83, v58
	v_mul_f32_e32 v58, 0x3eb8f4ab, v82
	v_fma_f32 v30, 0xbe8c1d8e, v81, -v30
	v_fmac_f32_e32 v60, 0x3f763a35, v10
	v_add_f32_e32 v29, v29, v64
	v_mul_f32_e32 v64, 0x3f6eb680, v4
	v_fmamk_f32 v78, v81, 0x3f6eb680, v58
	v_add_f32_e32 v30, v30, v61
	v_add_f32_e32 v60, v60, v62
	v_mul_f32_e32 v61, 0xbf65296c, v82
	v_fmamk_f32 v62, v10, 0xbeb8f4ab, v64
	v_add_f32_e32 v63, v78, v63
	v_fma_f32 v58, 0x3f6eb680, v81, -v58
	v_fmac_f32_e32 v64, 0x3eb8f4ab, v10
	v_fmamk_f32 v78, v81, 0x3ee437d1, v61
	v_add_f32_e32 v62, v62, v65
	v_mul_f32_e32 v65, 0x3ee437d1, v4
	v_add_f32_e32 v57, v58, v57
	v_add_f32_e32 v58, v64, v68
	;; [unrolled: 1-line block ×3, first 2 shown]
	v_mul_f32_e32 v68, 0xbf06c442, v82
	v_fmamk_f32 v69, v10, 0x3f65296c, v65
	v_fma_f32 v61, 0x3ee437d1, v81, -v61
	v_mul_f32_e32 v78, 0xbf59a7d5, v4
	v_fmac_f32_e32 v65, 0xbf65296c, v10
	v_fmamk_f32 v83, v81, 0xbf59a7d5, v68
	v_add_f32_e32 v69, v69, v70
	v_add_f32_e32 v61, v61, v66
	v_fmamk_f32 v66, v10, 0x3f06c442, v78
	v_mul_f32_e32 v70, 0x3f4c4adb, v82
	v_fma_f32 v68, 0xbf59a7d5, v81, -v68
	v_fmac_f32_e32 v78, 0xbf06c442, v10
	v_add_f32_e32 v79, v79, v85
	v_add_f32_e32 v66, v66, v76
	v_fmamk_f32 v76, v81, 0xbf1a4643, v70
	v_add_f32_e32 v68, v68, v71
	v_add_f32_e32 v71, v78, v72
	v_mul_f32_e32 v72, 0x3f2c7751, v82
	v_add_f32_e32 v65, v65, v67
	v_add_f32_e32 v67, v83, v73
	v_mul_f32_e32 v73, 0xbf1a4643, v4
	v_add_f32_e32 v74, v76, v74
	v_fma_f32 v70, 0xbf1a4643, v81, -v70
	v_fmamk_f32 v76, v81, 0x3f3d2fb0, v72
	v_mul_f32_e32 v4, 0x3f3d2fb0, v4
	v_fmamk_f32 v78, v10, 0xbf4c4adb, v73
	v_fmac_f32_e32 v73, 0x3f4c4adb, v10
	v_add_f32_e32 v70, v70, v75
	v_add_f32_e32 v75, v76, v79
	v_sub_f32_e32 v76, v22, v5
	v_add_f32_e32 v5, v22, v5
	v_add_f32_e32 v77, v78, v77
	v_fmamk_f32 v78, v10, 0xbf2c7751, v4
	v_fma_f32 v72, 0x3f3d2fb0, v81, -v72
	v_add_f32_e32 v22, v21, v9
	v_mul_f32_e32 v79, 0xbf763a35, v76
	v_fmac_f32_e32 v4, 0x3f2c7751, v10
	v_sub_f32_e32 v9, v21, v9
	v_mul_f32_e32 v10, 0xbe8c1d8e, v5
	v_add_f32_e32 v21, v78, v59
	v_fmamk_f32 v59, v22, 0xbe8c1d8e, v79
	v_add_f32_e32 v25, v72, v25
	v_add_f32_e32 v4, v4, v6
	v_fmamk_f32 v6, v9, 0x3f763a35, v10
	v_mul_f32_e32 v72, 0x3f06c442, v76
	v_fmac_f32_e32 v10, 0xbf763a35, v9
	v_add_f32_e32 v11, v59, v11
	v_fma_f32 v59, 0xbe8c1d8e, v22, -v79
	v_add_f32_e32 v6, v6, v26
	v_fmamk_f32 v26, v22, 0xbf59a7d5, v72
	v_mul_f32_e32 v78, 0xbf59a7d5, v5
	v_add_f32_e32 v10, v10, v28
	v_mul_f32_e32 v28, 0x3f2c7751, v76
	v_add_f32_e32 v23, v59, v23
	v_add_f32_e32 v26, v26, v27
	v_fmamk_f32 v27, v9, 0xbf06c442, v78
	v_fma_f32 v59, 0xbf59a7d5, v22, -v72
	v_fmamk_f32 v72, v22, 0x3f3d2fb0, v28
	v_mul_f32_e32 v79, 0x3f3d2fb0, v5
	v_fmac_f32_e32 v78, 0x3f06c442, v9
	v_add_f32_e32 v27, v27, v31
	v_add_f32_e32 v7, v59, v7
	;; [unrolled: 1-line block ×3, first 2 shown]
	v_fmamk_f32 v56, v9, 0xbf2c7751, v79
	v_mul_f32_e32 v59, 0xbf65296c, v76
	v_fma_f32 v28, 0x3f3d2fb0, v22, -v28
	v_fmac_f32_e32 v79, 0x3f2c7751, v9
	v_mul_f32_e32 v72, 0x3ee437d1, v5
	v_add_f32_e32 v24, v78, v24
	v_add_f32_e32 v29, v56, v29
	v_fmamk_f32 v56, v22, 0x3ee437d1, v59
	v_add_f32_e32 v28, v28, v30
	v_add_f32_e32 v30, v79, v60
	v_fmamk_f32 v60, v9, 0x3f65296c, v72
	v_mul_f32_e32 v78, 0xbe3c28d5, v76
	v_fma_f32 v59, 0x3ee437d1, v22, -v59
	v_add_f32_e32 v56, v56, v63
	v_fmac_f32_e32 v72, 0xbf65296c, v9
	v_add_f32_e32 v60, v60, v62
	v_fmamk_f32 v62, v22, 0xbf7ba420, v78
	v_mul_f32_e32 v63, 0xbf7ba420, v5
	v_add_f32_e32 v57, v59, v57
	v_mul_f32_e32 v59, 0x3f7ee86f, v76
	v_add_f32_e32 v58, v72, v58
	v_add_f32_e32 v62, v62, v64
	v_fmamk_f32 v64, v9, 0x3e3c28d5, v63
	v_fma_f32 v72, 0xbf7ba420, v22, -v78
	v_fmac_f32_e32 v63, 0xbe3c28d5, v9
	v_fmamk_f32 v78, v22, 0x3dbcf732, v59
	v_mul_f32_e32 v79, 0x3dbcf732, v5
	v_add_f32_e32 v64, v64, v69
	v_mul_f32_e32 v69, 0xbeb8f4ab, v76
	v_add_f32_e32 v63, v63, v65
	v_add_f32_e32 v65, v78, v67
	v_fmamk_f32 v67, v9, 0xbf7ee86f, v79
	v_add_f32_e32 v61, v72, v61
	v_fma_f32 v59, 0x3dbcf732, v22, -v59
	v_mul_f32_e32 v72, 0x3f6eb680, v5
	v_mul_f32_e32 v76, 0xbf4c4adb, v76
	v_add_f32_e32 v66, v67, v66
	v_fmamk_f32 v67, v22, 0x3f6eb680, v69
	v_fma_f32 v69, 0x3f6eb680, v22, -v69
	v_add_f32_e32 v73, v73, v80
	v_add_f32_e32 v59, v59, v68
	v_fmamk_f32 v68, v9, 0x3eb8f4ab, v72
	v_add_f32_e32 v67, v67, v74
	v_fmac_f32_e32 v72, 0xbeb8f4ab, v9
	v_fmamk_f32 v74, v22, 0xbf1a4643, v76
	v_add_f32_e32 v69, v69, v70
	v_sub_f32_e32 v70, v19, v8
	v_add_f32_e32 v68, v68, v77
	v_mul_f32_e32 v5, 0xbf1a4643, v5
	v_add_f32_e32 v72, v72, v73
	v_add_f32_e32 v73, v74, v75
	;; [unrolled: 1-line block ×3, first 2 shown]
	v_mul_f32_e32 v77, 0xbf4c4adb, v70
	v_add_f32_e32 v8, v19, v8
	v_fmac_f32_e32 v79, 0x3f7ee86f, v9
	v_fmamk_f32 v74, v9, 0x3f4c4adb, v5
	v_fma_f32 v19, 0xbf1a4643, v22, -v76
	v_fmac_f32_e32 v5, 0xbf4c4adb, v9
	v_sub_f32_e32 v9, v20, v15
	v_fmamk_f32 v15, v75, 0xbf1a4643, v77
	v_mul_f32_e32 v20, 0xbf1a4643, v8
	v_add_f32_e32 v19, v19, v25
	v_add_f32_e32 v4, v5, v4
	v_fma_f32 v22, 0xbf1a4643, v75, -v77
	v_add_f32_e32 v5, v15, v11
	v_fmamk_f32 v11, v9, 0x3f4c4adb, v20
	v_mul_f32_e32 v15, 0x3f763a35, v70
	v_fmac_f32_e32 v20, 0xbf4c4adb, v9
	v_mul_f32_e32 v25, 0xbe8c1d8e, v8
	v_add_f32_e32 v22, v22, v23
	v_add_f32_e32 v6, v11, v6
	v_fmamk_f32 v11, v75, 0xbe8c1d8e, v15
	v_add_f32_e32 v10, v20, v10
	v_fmamk_f32 v20, v9, 0xbf763a35, v25
	v_mul_f32_e32 v23, 0xbeb8f4ab, v70
	v_fma_f32 v15, 0xbe8c1d8e, v75, -v15
	v_fmac_f32_e32 v25, 0x3f763a35, v9
	v_add_f32_e32 v11, v11, v26
	v_add_f32_e32 v20, v20, v27
	v_fmamk_f32 v26, v75, 0x3f6eb680, v23
	v_mul_f32_e32 v27, 0x3f6eb680, v8
	v_add_f32_e32 v7, v15, v7
	v_add_f32_e32 v15, v25, v24
	v_mul_f32_e32 v24, 0xbf06c442, v70
	v_add_f32_e32 v21, v74, v21
	v_add_f32_e32 v25, v26, v31
	v_fmamk_f32 v26, v9, 0x3eb8f4ab, v27
	v_fma_f32 v23, 0x3f6eb680, v75, -v23
	v_fmac_f32_e32 v27, 0xbeb8f4ab, v9
	v_fmamk_f32 v31, v75, 0xbf59a7d5, v24
	v_mul_f32_e32 v74, 0xbf59a7d5, v8
	v_add_f32_e32 v26, v26, v29
	v_add_f32_e32 v23, v23, v28
	;; [unrolled: 1-line block ×4, first 2 shown]
	v_fmamk_f32 v29, v9, 0x3f06c442, v74
	v_mul_f32_e32 v30, 0x3f7ee86f, v70
	v_fma_f32 v24, 0xbf59a7d5, v75, -v24
	v_fmac_f32_e32 v74, 0xbf06c442, v9
	v_mul_f32_e32 v31, 0x3dbcf732, v8
	v_add_f32_e32 v29, v29, v60
	v_fmamk_f32 v56, v75, 0x3dbcf732, v30
	v_add_f32_e32 v24, v24, v57
	v_add_f32_e32 v57, v74, v58
	v_fmamk_f32 v58, v9, 0xbf7ee86f, v31
	v_mul_f32_e32 v60, 0xbf2c7751, v70
	v_fma_f32 v30, 0x3dbcf732, v75, -v30
	v_add_f32_e32 v56, v56, v62
	v_fmac_f32_e32 v31, 0x3f7ee86f, v9
	v_add_f32_e32 v58, v58, v64
	v_fmamk_f32 v62, v75, 0x3f3d2fb0, v60
	v_mul_f32_e32 v64, 0x3f3d2fb0, v8
	v_add_f32_e32 v30, v30, v61
	v_mul_f32_e32 v61, 0xbe3c28d5, v70
	v_add_f32_e32 v71, v79, v71
	v_add_f32_e32 v31, v31, v63
	;; [unrolled: 1-line block ×3, first 2 shown]
	v_fmamk_f32 v63, v9, 0x3f2c7751, v64
	v_fma_f32 v60, 0x3f3d2fb0, v75, -v60
	v_fmac_f32_e32 v64, 0xbf2c7751, v9
	v_fmamk_f32 v65, v75, 0xbf7ba420, v61
	v_mul_f32_e32 v74, 0xbf7ba420, v8
	v_mul_f32_e32 v8, 0x3ee437d1, v8
	v_add_f32_e32 v59, v60, v59
	v_add_f32_e32 v60, v64, v71
	;; [unrolled: 1-line block ×3, first 2 shown]
	v_fmamk_f32 v65, v9, 0x3e3c28d5, v74
	v_add_f32_e32 v63, v63, v66
	v_mul_f32_e32 v66, 0x3f65296c, v70
	v_sub_f32_e32 v70, v18, v14
	v_add_f32_e32 v14, v18, v14
	v_add_f32_e32 v65, v65, v68
	v_fmamk_f32 v68, v9, 0xbf65296c, v8
	v_fmac_f32_e32 v74, 0xbe3c28d5, v9
	v_fmamk_f32 v67, v75, 0x3ee437d1, v66
	v_mul_f32_e32 v18, 0xbf06c442, v70
	v_fma_f32 v66, 0x3ee437d1, v75, -v66
	v_add_f32_e32 v21, v68, v21
	v_add_f32_e32 v68, v17, v13
	v_fmac_f32_e32 v8, 0x3f65296c, v9
	v_sub_f32_e32 v9, v17, v13
	v_mul_f32_e32 v13, 0xbf59a7d5, v14
	v_add_f32_e32 v19, v66, v19
	v_fmamk_f32 v17, v68, 0xbf59a7d5, v18
	v_add_f32_e32 v4, v8, v4
	v_mul_f32_e32 v8, 0x3f65296c, v70
	v_fmamk_f32 v66, v9, 0x3f06c442, v13
	v_fmac_f32_e32 v13, 0xbf06c442, v9
	v_add_f32_e32 v5, v17, v5
	v_fma_f32 v17, 0xbf59a7d5, v68, -v18
	v_fmamk_f32 v18, v68, 0x3ee437d1, v8
	v_add_f32_e32 v6, v66, v6
	v_mul_f32_e32 v66, 0x3ee437d1, v14
	v_add_f32_e32 v10, v13, v10
	v_add_f32_e32 v17, v17, v22
	;; [unrolled: 1-line block ×3, first 2 shown]
	v_mul_f32_e32 v13, 0xbf7ee86f, v70
	v_fmamk_f32 v18, v9, 0xbf65296c, v66
	v_fma_f32 v8, 0x3ee437d1, v68, -v8
	v_fmac_f32_e32 v66, 0x3f65296c, v9
	v_mul_f32_e32 v22, 0x3dbcf732, v14
	v_fmamk_f32 v71, v68, 0x3dbcf732, v13
	v_add_f32_e32 v18, v18, v20
	v_add_f32_e32 v7, v8, v7
	;; [unrolled: 1-line block ×3, first 2 shown]
	v_fmamk_f32 v15, v9, 0x3f7ee86f, v22
	v_add_f32_e32 v20, v71, v25
	v_mul_f32_e32 v25, 0x3f4c4adb, v70
	v_fma_f32 v13, 0x3dbcf732, v68, -v13
	v_fmac_f32_e32 v22, 0xbf7ee86f, v9
	v_add_f32_e32 v15, v15, v26
	v_mul_f32_e32 v26, 0xbf1a4643, v14
	v_fmamk_f32 v66, v68, 0xbf1a4643, v25
	v_add_f32_e32 v13, v13, v23
	v_add_f32_e32 v22, v22, v27
	v_mul_f32_e32 v23, 0xbeb8f4ab, v70
	v_fmamk_f32 v27, v9, 0xbf4c4adb, v26
	v_fma_f32 v61, 0xbf7ba420, v75, -v61
	v_add_f32_e32 v66, v66, v28
	v_fma_f32 v25, 0xbf1a4643, v68, -v25
	v_fmamk_f32 v28, v68, 0x3f6eb680, v23
	v_add_f32_e32 v27, v27, v29
	v_mul_f32_e32 v29, 0x3f6eb680, v14
	v_add_f32_e32 v61, v61, v69
	v_add_f32_e32 v69, v74, v72
	;; [unrolled: 1-line block ×4, first 2 shown]
	v_mul_f32_e32 v24, 0xbe3c28d5, v70
	v_fmamk_f32 v25, v9, 0x3eb8f4ab, v29
	v_fmac_f32_e32 v29, 0xbeb8f4ab, v9
	v_mul_f32_e32 v28, 0xbf7ba420, v14
	v_add_f32_e32 v67, v67, v73
	v_fma_f32 v23, 0x3f6eb680, v68, -v23
	v_fmamk_f32 v56, v68, 0xbf7ba420, v24
	v_add_f32_e32 v58, v25, v58
	v_add_f32_e32 v73, v29, v31
	v_fmamk_f32 v25, v9, 0x3e3c28d5, v28
	v_mul_f32_e32 v29, 0x3f2c7751, v70
	v_fma_f32 v24, 0xbf7ba420, v68, -v24
	v_add_f32_e32 v23, v23, v30
	v_fmac_f32_e32 v28, 0xbe3c28d5, v9
	v_add_f32_e32 v63, v25, v63
	v_mul_f32_e32 v25, 0x3f3d2fb0, v14
	v_fmamk_f32 v30, v68, 0x3f3d2fb0, v29
	v_add_f32_e32 v59, v24, v59
	v_mul_f32_e32 v24, 0xbf763a35, v70
	v_add_f32_e32 v60, v28, v60
	v_fmamk_f32 v28, v9, 0xbf2c7751, v25
	v_add_f32_e32 v64, v30, v64
	v_fma_f32 v29, 0x3f3d2fb0, v68, -v29
	v_fmac_f32_e32 v25, 0x3f2c7751, v9
	v_fmamk_f32 v30, v68, 0xbe8c1d8e, v24
	v_mul_f32_e32 v14, 0xbe8c1d8e, v14
	v_sub_f32_e32 v70, v2, v12
	v_fma_f32 v24, 0xbe8c1d8e, v68, -v24
	v_add_f32_e32 v68, v2, v12
	v_fmac_f32_e32 v26, 0x3f4c4adb, v9
	v_add_f32_e32 v69, v25, v69
	v_fmamk_f32 v25, v9, 0x3f763a35, v14
	v_add_f32_e32 v74, v16, v3
	v_mul_f32_e32 v12, 0xbe3c28d5, v70
	v_fmac_f32_e32 v14, 0xbf763a35, v9
	v_sub_f32_e32 v75, v16, v3
	v_mul_f32_e32 v9, 0xbf7ba420, v68
	v_add_f32_e32 v21, v25, v21
	v_fmamk_f32 v2, v74, 0xbf7ba420, v12
	v_add_f32_e32 v77, v14, v4
	v_mul_f32_e32 v14, 0x3eb8f4ab, v70
	v_fmamk_f32 v3, v75, 0x3e3c28d5, v9
	v_fmac_f32_e32 v9, 0xbe3c28d5, v75
	v_add_f32_e32 v2, v2, v5
	v_fma_f32 v4, 0xbf7ba420, v74, -v12
	v_fmamk_f32 v5, v74, 0x3f6eb680, v14
	v_add_f32_e32 v3, v3, v6
	v_mul_f32_e32 v6, 0x3f6eb680, v68
	v_add_f32_e32 v25, v9, v10
	v_mul_f32_e32 v9, 0xbf06c442, v70
	v_add_f32_e32 v76, v24, v19
	v_add_f32_e32 v24, v4, v17
	;; [unrolled: 1-line block ×3, first 2 shown]
	v_fmamk_f32 v5, v75, 0xbeb8f4ab, v6
	v_fma_f32 v10, 0x3f6eb680, v74, -v14
	v_fmac_f32_e32 v6, 0x3eb8f4ab, v75
	v_fmamk_f32 v11, v74, 0xbf59a7d5, v9
	v_mul_f32_e32 v12, 0xbf59a7d5, v68
	v_add_f32_e32 v65, v28, v65
	v_add_f32_e32 v61, v29, v61
	;; [unrolled: 1-line block ×5, first 2 shown]
	v_fmamk_f32 v7, v75, 0x3f06c442, v12
	v_mul_f32_e32 v10, 0x3f2c7751, v70
	v_fma_f32 v8, 0xbf59a7d5, v74, -v9
	v_fmac_f32_e32 v12, 0xbf06c442, v75
	v_mul_f32_e32 v11, 0x3f3d2fb0, v68
	v_add_f32_e32 v67, v30, v67
	v_fmamk_f32 v9, v74, 0x3f3d2fb0, v10
	v_add_f32_e32 v30, v8, v13
	v_add_f32_e32 v31, v12, v22
	v_fmamk_f32 v12, v75, 0xbf2c7751, v11
	v_mul_f32_e32 v13, 0xbf4c4adb, v70
	v_add_f32_e32 v26, v26, v57
	v_add_f32_e32 v7, v7, v15
	v_add_f32_e32 v8, v9, v66
	v_fma_f32 v10, 0x3f3d2fb0, v74, -v10
	v_fmac_f32_e32 v11, 0x3f2c7751, v75
	v_add_f32_e32 v9, v12, v27
	v_fmamk_f32 v12, v74, 0xbf1a4643, v13
	v_mul_f32_e32 v14, 0xbf1a4643, v68
	v_mul_f32_e32 v15, 0x3f65296c, v70
	v_add_f32_e32 v62, v56, v62
	v_add_f32_e32 v56, v10, v71
	;; [unrolled: 1-line block ×4, first 2 shown]
	v_fmamk_f32 v11, v75, 0x3f4c4adb, v14
	v_fma_f32 v12, 0xbf1a4643, v74, -v13
	v_fmamk_f32 v13, v74, 0x3ee437d1, v15
	v_mul_f32_e32 v16, 0x3ee437d1, v68
	v_mul_f32_e32 v17, 0xbf763a35, v70
	;; [unrolled: 1-line block ×3, first 2 shown]
	v_add_f32_e32 v5, v5, v18
	v_fmac_f32_e32 v14, 0xbf4c4adb, v75
	v_add_f32_e32 v11, v11, v58
	v_add_f32_e32 v26, v12, v23
	;; [unrolled: 1-line block ×3, first 2 shown]
	v_fmamk_f32 v13, v75, 0xbf65296c, v16
	v_fmac_f32_e32 v16, 0x3f65296c, v75
	v_fmamk_f32 v18, v74, 0xbe8c1d8e, v17
	v_fmamk_f32 v20, v75, 0x3f763a35, v19
	v_fma_f32 v22, 0xbe8c1d8e, v74, -v17
	v_mul_f32_e32 v23, 0x3f7ee86f, v70
	v_mul_f32_e32 v58, 0x3dbcf732, v68
	v_add_f32_e32 v27, v14, v73
	v_fma_f32 v14, 0x3ee437d1, v74, -v15
	v_add_f32_e32 v15, v16, v60
	v_add_f32_e32 v16, v18, v64
	;; [unrolled: 1-line block ×4, first 2 shown]
	v_fmamk_f32 v20, v74, 0x3dbcf732, v23
	v_fmamk_f32 v22, v75, 0xbf7ee86f, v58
	v_fma_f32 v23, 0x3dbcf732, v74, -v23
	v_fmac_f32_e32 v58, 0x3f7ee86f, v75
	v_fmac_f32_e32 v19, 0xbf763a35, v75
	v_add_f32_e32 v13, v13, v63
	v_add_f32_e32 v20, v20, v67
	;; [unrolled: 1-line block ×7, first 2 shown]
	ds_write2_b64 v139, v[0:1], v[2:3] offset1:17
	ds_write2_b64 v139, v[4:5], v[6:7] offset0:34 offset1:51
	ds_write2_b64 v139, v[8:9], v[10:11] offset0:68 offset1:85
	;; [unrolled: 1-line block ×7, first 2 shown]
	ds_write_b64 v139, v[24:25] offset:2176
	v_add_nc_u32_e32 v4, 0x2000, v135
	v_add_nc_u32_e32 v5, 0x2c00, v135
	s_waitcnt lgkmcnt(0)
	s_barrier
	buffer_gl0_inv
	ds_read2_b64 v[0:3], v135 offset1:102
	ds_read2_b64 v[20:23], v133 offset0:33 offset1:135
	ds_read2_b64 v[16:19], v134 offset0:66 offset1:168
	;; [unrolled: 1-line block ×5, first 2 shown]
	s_and_saveexec_b32 s0, vcc_lo
	s_cbranch_execz .LBB0_7
; %bb.6:
	ds_read_b64 v[26:27], v135 offset:1632
	ds_read_b64 v[56:57], v135 offset:3944
	;; [unrolled: 1-line block ×6, first 2 shown]
.LBB0_7:
	s_or_b32 exec_lo, exec_lo, s0
	s_waitcnt lgkmcnt(4)
	v_mul_f32_e32 v58, v49, v21
	v_mul_f32_e32 v49, v49, v20
	s_waitcnt lgkmcnt(3)
	v_mul_f32_e32 v59, v51, v17
	v_mul_f32_e32 v51, v51, v16
	v_fmac_f32_e32 v58, v48, v20
	v_fma_f32 v20, v48, v21, -v49
	s_waitcnt lgkmcnt(2)
	v_mul_f32_e32 v21, v41, v13
	v_fmac_f32_e32 v59, v50, v16
	v_mul_f32_e32 v16, v41, v12
	s_waitcnt lgkmcnt(1)
	v_mul_f32_e32 v41, v43, v9
	v_fma_f32 v17, v50, v17, -v51
	v_fmac_f32_e32 v21, v40, v12
	v_mul_f32_e32 v12, v43, v8
	v_fma_f32 v13, v40, v13, -v16
	s_waitcnt lgkmcnt(0)
	v_mul_f32_e32 v16, v126, v5
	v_fmac_f32_e32 v41, v42, v8
	v_mul_f32_e32 v8, v126, v4
	v_fma_f32 v9, v42, v9, -v12
	v_mul_f32_e32 v40, v53, v23
	v_fmac_f32_e32 v16, v125, v4
	v_mul_f32_e32 v4, v53, v22
	v_fma_f32 v5, v125, v5, -v8
	v_mul_f32_e32 v42, v55, v19
	v_mul_f32_e32 v8, v55, v18
	v_fmac_f32_e32 v40, v52, v22
	v_fma_f32 v22, v52, v23, -v4
	v_mul_f32_e32 v23, v45, v15
	v_fmac_f32_e32 v42, v54, v18
	v_mul_f32_e32 v4, v45, v14
	v_fma_f32 v18, v54, v19, -v8
	v_mul_f32_e32 v8, v47, v10
	v_fmac_f32_e32 v23, v44, v14
	v_mul_f32_e32 v19, v47, v11
	v_fma_f32 v14, v44, v15, -v4
	v_mul_f32_e32 v15, v128, v7
	v_fma_f32 v43, v46, v11, -v8
	v_add_f32_e32 v8, v59, v41
	v_mul_f32_e32 v4, v128, v6
	v_fmac_f32_e32 v19, v46, v10
	v_fmac_f32_e32 v15, v127, v6
	v_add_f32_e32 v6, v0, v59
	v_fma_f32 v11, -0.5, v8, v0
	v_sub_f32_e32 v0, v17, v9
	v_fma_f32 v44, v127, v7, -v4
	v_add_f32_e32 v4, v17, v9
	v_add_f32_e32 v8, v6, v41
	;; [unrolled: 1-line block ×3, first 2 shown]
	v_fmamk_f32 v10, v0, 0xbf5db3d7, v11
	v_fmac_f32_e32 v11, 0x3f5db3d7, v0
	v_add_f32_e32 v0, v13, v5
	v_fma_f32 v17, -0.5, v4, v1
	v_sub_f32_e32 v1, v59, v41
	v_add_f32_e32 v9, v6, v9
	v_add_f32_e32 v4, v21, v16
	;; [unrolled: 1-line block ×3, first 2 shown]
	v_fmac_f32_e32 v20, -0.5, v0
	v_sub_f32_e32 v0, v21, v16
	v_fmamk_f32 v41, v1, 0x3f5db3d7, v17
	v_add_f32_e32 v7, v58, v21
	v_fmac_f32_e32 v58, -0.5, v4
	v_sub_f32_e32 v4, v13, v5
	v_fmac_f32_e32 v17, 0xbf5db3d7, v1
	v_fmamk_f32 v1, v0, 0x3f5db3d7, v20
	v_fmac_f32_e32 v20, 0xbf5db3d7, v0
	v_add_f32_e32 v12, v7, v16
	v_fmamk_f32 v7, v4, 0xbf5db3d7, v58
	v_fmac_f32_e32 v58, 0x3f5db3d7, v4
	v_mul_f32_e32 v13, 0xbf5db3d7, v1
	v_mul_f32_e32 v16, 0xbf5db3d7, v20
	v_add_f32_e32 v21, v6, v5
	v_mul_f32_e32 v20, -0.5, v20
	v_add_f32_e32 v0, v8, v12
	v_sub_f32_e32 v8, v8, v12
	v_fmac_f32_e32 v16, -0.5, v58
	v_mul_f32_e32 v45, 0.5, v1
	v_fmac_f32_e32 v13, 0.5, v7
	v_fmac_f32_e32 v20, 0x3f5db3d7, v58
	v_add_f32_e32 v1, v9, v21
	v_add_f32_e32 v6, v11, v16
	v_sub_f32_e32 v12, v11, v16
	v_add_f32_e32 v16, v42, v19
	v_sub_f32_e32 v9, v9, v21
	v_add_f32_e32 v21, v2, v42
	v_fmac_f32_e32 v45, 0x3f5db3d7, v7
	v_add_f32_e32 v4, v10, v13
	v_fma_f32 v2, -0.5, v16, v2
	v_sub_f32_e32 v16, v18, v43
	v_add_f32_e32 v7, v17, v20
	v_sub_f32_e32 v10, v10, v13
	v_sub_f32_e32 v13, v17, v20
	v_add_f32_e32 v17, v18, v43
	v_add_f32_e32 v20, v21, v19
	;; [unrolled: 1-line block ×3, first 2 shown]
	v_fmamk_f32 v21, v16, 0xbf5db3d7, v2
	v_fmac_f32_e32 v2, 0x3f5db3d7, v16
	v_add_f32_e32 v16, v14, v44
	v_add_f32_e32 v5, v41, v45
	v_sub_f32_e32 v11, v41, v45
	v_fmac_f32_e32 v3, -0.5, v17
	v_sub_f32_e32 v17, v42, v19
	v_add_f32_e32 v41, v18, v43
	v_add_f32_e32 v18, v23, v15
	;; [unrolled: 1-line block ×3, first 2 shown]
	v_fmac_f32_e32 v22, -0.5, v16
	v_sub_f32_e32 v16, v23, v15
	v_fmamk_f32 v42, v17, 0x3f5db3d7, v3
	v_add_f32_e32 v23, v40, v23
	v_fmac_f32_e32 v40, -0.5, v18
	v_sub_f32_e32 v14, v14, v44
	v_fmac_f32_e32 v3, 0xbf5db3d7, v17
	v_fmamk_f32 v17, v16, 0x3f5db3d7, v22
	v_fmac_f32_e32 v22, 0xbf5db3d7, v16
	v_add_f32_e32 v23, v23, v15
	v_fmamk_f32 v15, v14, 0xbf5db3d7, v40
	v_fmac_f32_e32 v40, 0x3f5db3d7, v14
	v_mul_f32_e32 v43, 0xbf5db3d7, v17
	v_mul_f32_e32 v45, 0xbf5db3d7, v22
	v_mul_f32_e32 v46, 0.5, v17
	v_mul_f32_e32 v47, -0.5, v22
	v_add_f32_e32 v44, v19, v44
	v_fmac_f32_e32 v43, 0.5, v15
	v_fmac_f32_e32 v45, -0.5, v40
	v_fmac_f32_e32 v46, 0x3f5db3d7, v15
	v_fmac_f32_e32 v47, 0x3f5db3d7, v40
	v_add_f32_e32 v14, v20, v23
	v_add_f32_e32 v16, v21, v43
	v_add_f32_e32 v18, v2, v45
	v_add_f32_e32 v15, v41, v44
	v_add_f32_e32 v17, v42, v46
	v_add_f32_e32 v19, v3, v47
	v_sub_f32_e32 v20, v20, v23
	v_sub_f32_e32 v22, v21, v43
	v_sub_f32_e32 v2, v2, v45
	v_sub_f32_e32 v21, v41, v44
	v_sub_f32_e32 v23, v42, v46
	v_sub_f32_e32 v3, v3, v47
	ds_write_b64 v135, v[4:5] offset:2312
	ds_write_b64 v135, v[6:7] offset:4624
	;; [unrolled: 1-line block ×5, first 2 shown]
	ds_write2_b64 v135, v[0:1], v[14:15] offset1:102
	ds_write_b64 v135, v[16:17] offset:3128
	ds_write_b64 v135, v[18:19] offset:5440
	ds_write_b64 v135, v[20:21] offset:7752
	ds_write_b64 v135, v[22:23] offset:10064
	ds_write_b64 v135, v[2:3] offset:12376
	s_and_saveexec_b32 s0, vcc_lo
	s_cbranch_execz .LBB0_9
; %bb.8:
	v_mul_f32_e32 v3, v33, v28
	v_mul_f32_e32 v5, v124, v129
	;; [unrolled: 1-line block ×5, first 2 shown]
	v_fma_f32 v3, v32, v29, -v3
	v_fma_f32 v5, v123, v130, -v5
	v_mul_f32_e32 v0, v39, v30
	v_mul_f32_e32 v1, v35, v24
	;; [unrolled: 1-line block ×3, first 2 shown]
	v_fmac_f32_e32 v4, v32, v28
	v_fmac_f32_e32 v6, v123, v129
	v_fma_f32 v8, v36, v57, -v8
	v_add_f32_e32 v10, v3, v5
	v_mul_f32_e32 v2, v39, v31
	v_fma_f32 v0, v38, v31, -v0
	v_fma_f32 v1, v34, v25, -v1
	v_mul_f32_e32 v11, v35, v25
	v_fmac_f32_e32 v9, v36, v56
	v_add_f32_e32 v12, v4, v6
	v_fma_f32 v10, -0.5, v10, v8
	v_sub_f32_e32 v13, v4, v6
	v_add_f32_e32 v7, v0, v1
	v_fmac_f32_e32 v2, v38, v30
	v_fmac_f32_e32 v11, v34, v24
	v_fma_f32 v12, -0.5, v12, v9
	v_sub_f32_e32 v14, v3, v5
	v_fmamk_f32 v15, v13, 0xbf5db3d7, v10
	v_fma_f32 v16, -0.5, v7, v27
	v_sub_f32_e32 v7, v2, v11
	v_fmac_f32_e32 v10, 0x3f5db3d7, v13
	v_fmamk_f32 v17, v14, 0x3f5db3d7, v12
	v_mul_f32_e32 v13, -0.5, v15
	v_add_f32_e32 v19, v27, v0
	v_add_f32_e32 v20, v2, v11
	v_mul_f32_e32 v15, 0xbf5db3d7, v15
	v_add_f32_e32 v3, v8, v3
	v_add_f32_e32 v2, v26, v2
	;; [unrolled: 1-line block ×3, first 2 shown]
	v_fmamk_f32 v18, v7, 0xbf5db3d7, v16
	v_fmac_f32_e32 v12, 0xbf5db3d7, v14
	v_mul_f32_e32 v14, 0.5, v10
	v_fmac_f32_e32 v13, 0x3f5db3d7, v17
	v_fmac_f32_e32 v16, 0x3f5db3d7, v7
	v_add_f32_e32 v8, v19, v1
	v_fma_f32 v19, -0.5, v20, v26
	v_sub_f32_e32 v7, v0, v1
	v_fmac_f32_e32 v15, -0.5, v17
	v_mul_f32_e32 v17, 0xbf5db3d7, v10
	v_add_f32_e32 v20, v3, v5
	v_add_f32_e32 v2, v2, v11
	;; [unrolled: 1-line block ×3, first 2 shown]
	v_fmac_f32_e32 v14, 0x3f5db3d7, v12
	v_fmamk_f32 v21, v7, 0x3f5db3d7, v19
	v_fmac_f32_e32 v19, 0xbf5db3d7, v7
	v_fmac_f32_e32 v17, 0.5, v12
	v_add_f32_e32 v11, v8, v20
	v_add_f32_e32 v10, v2, v4
	v_sub_f32_e32 v5, v8, v20
	v_add_f32_e32 v9, v16, v14
	v_add_f32_e32 v8, v19, v17
	;; [unrolled: 1-line block ×4, first 2 shown]
	v_sub_f32_e32 v4, v2, v4
	v_sub_f32_e32 v3, v16, v14
	v_sub_f32_e32 v2, v19, v17
	v_sub_f32_e32 v1, v18, v13
	v_sub_f32_e32 v0, v21, v15
	ds_write_b64 v135, v[10:11] offset:1632
	ds_write_b64 v135, v[8:9] offset:3944
	;; [unrolled: 1-line block ×6, first 2 shown]
.LBB0_9:
	s_or_b32 exec_lo, exec_lo, s0
	s_waitcnt lgkmcnt(0)
	s_barrier
	buffer_gl0_inv
	ds_read2_b64 v[0:3], v135 offset1:102
	v_mad_u64_u32 v[12:13], null, s10, v100, 0
	v_mad_u64_u32 v[14:15], null, s8, v136, 0
	v_add_nc_u32_e32 v4, 0x400, v135
	v_add_nc_u32_e32 v8, 0x800, v135
	ds_read2_b64 v[4:7], v4 offset0:76 offset1:178
	ds_read2_b64 v[8:11], v8 offset0:152 offset1:254
	v_mad_u64_u32 v[16:17], null, s11, v100, v[13:14]
	s_mov_b32 s0, 0x8b5e3104
	s_mov_b32 s1, 0x3f42e5b8
	s_mul_i32 s2, s9, 0x330
	s_mul_hi_u32 s3, s8, 0x330
	s_add_i32 s2, s3, s2
	v_mad_u64_u32 v[17:18], null, s9, v136, v[15:16]
	s_waitcnt lgkmcnt(2)
	v_mul_f32_e32 v13, v104, v1
	v_mul_f32_e32 v19, v104, v0
	;; [unrolled: 1-line block ×4, first 2 shown]
	s_mul_i32 s3, s8, 0x330
	v_fmac_f32_e32 v13, v103, v0
	v_fma_f32 v0, v103, v1, -v19
	v_fma_f32 v1, v105, v3, -v20
	v_fmac_f32_e32 v22, v105, v2
	s_waitcnt lgkmcnt(1)
	v_mul_f32_e32 v26, v102, v5
	v_cvt_f64_f32_e32 v[18:19], v13
	v_cvt_f64_f32_e32 v[20:21], v0
	;; [unrolled: 1-line block ×4, first 2 shown]
	v_mov_b32_e32 v13, v16
	v_mul_f32_e32 v16, v102, v4
	v_mov_b32_e32 v15, v17
	v_mul_f32_e32 v27, v122, v7
	v_mul_f32_e32 v17, v122, v6
	v_add_nc_u32_e32 v2, 0x1000, v135
	v_fmac_f32_e32 v26, v101, v4
	v_fma_f32 v32, v101, v5, -v16
	s_waitcnt lgkmcnt(0)
	v_mul_f32_e32 v28, v120, v9
	v_mul_f32_e32 v29, v120, v8
	v_fmac_f32_e32 v27, v121, v6
	v_fma_f32 v33, v121, v7, -v17
	ds_read2_b64 v[0:3], v2 offset0:100 offset1:202
	v_fmac_f32_e32 v28, v119, v8
	v_mul_f32_e32 v30, v118, v11
	v_mul_f32_e32 v31, v118, v10
	v_lshlrev_b64 v[12:13], 3, v[12:13]
	v_lshlrev_b64 v[14:15], 3, v[14:15]
	v_mul_f64 v[4:5], v[18:19], s[0:1]
	v_mul_f64 v[6:7], v[20:21], s[0:1]
	;; [unrolled: 1-line block ×3, first 2 shown]
	v_fma_f32 v24, v119, v9, -v29
	v_mul_f64 v[16:17], v[22:23], s[0:1]
	v_cvt_f64_f32_e32 v[20:21], v33
	v_cvt_f64_f32_e32 v[22:23], v28
	v_fmac_f32_e32 v30, v117, v10
	v_cvt_f64_f32_e32 v[24:25], v24
	v_fma_f32 v31, v117, v11, -v31
	v_add_co_u32 v29, vcc_lo, s4, v12
	v_cvt_f64_f32_e32 v[8:9], v26
	v_cvt_f64_f32_e32 v[10:11], v32
	v_add_co_ci_u32_e32 v32, vcc_lo, s5, v13, vcc_lo
	v_cvt_f64_f32_e32 v[12:13], v27
	v_cvt_f64_f32_e32 v[26:27], v30
	v_add_co_u32 v14, vcc_lo, v29, v14
	v_add_co_ci_u32_e32 v15, vcc_lo, v32, v15, vcc_lo
	v_cvt_f32_f64_e32 v28, v[4:5]
	v_cvt_f64_f32_e32 v[4:5], v31
	v_cvt_f32_f64_e32 v29, v[6:7]
	s_waitcnt lgkmcnt(0)
	v_mul_f32_e32 v6, v116, v1
	v_mul_f32_e32 v7, v116, v0
	v_cvt_f32_f64_e32 v16, v[16:17]
	v_cvt_f32_f64_e32 v17, v[18:19]
	v_mul_f64 v[18:19], v[20:21], s[0:1]
	v_fmac_f32_e32 v6, v115, v0
	v_fma_f32 v7, v115, v1, -v7
	v_mul_f64 v[0:1], v[22:23], s[0:1]
	v_mul_f64 v[20:21], v[24:25], s[0:1]
	;; [unrolled: 1-line block ×3, first 2 shown]
	v_cvt_f64_f32_e32 v[24:25], v6
	v_add_nc_u32_e32 v6, 0x1800, v135
	v_mul_f64 v[10:11], v[10:11], s[0:1]
	v_mul_f64 v[12:13], v[12:13], s[0:1]
	;; [unrolled: 1-line block ×3, first 2 shown]
	v_cvt_f64_f32_e32 v[26:27], v7
	v_add_co_u32 v30, vcc_lo, v14, s3
	v_add_co_ci_u32_e32 v31, vcc_lo, s2, v15, vcc_lo
	v_mul_f64 v[32:33], v[4:5], s[0:1]
	ds_read2_b64 v[4:7], v6 offset0:48 offset1:150
	global_store_dwordx2 v[14:15], v[28:29], off
	global_store_dwordx2 v[30:31], v[16:17], off
	v_mul_f32_e32 v17, v114, v2
	v_cvt_f32_f64_e32 v14, v[0:1]
	v_cvt_f32_f64_e32 v15, v[20:21]
	v_mul_f32_e32 v20, v114, v3
	v_mul_f64 v[0:1], v[24:25], s[0:1]
	v_cvt_f32_f64_e32 v8, v[8:9]
	v_cvt_f32_f64_e32 v9, v[10:11]
	;; [unrolled: 1-line block ×3, first 2 shown]
	v_fmac_f32_e32 v20, v113, v2
	v_fma_f32 v2, v113, v3, -v17
	v_cvt_f32_f64_e32 v13, v[18:19]
	v_mul_f64 v[18:19], v[26:27], s[0:1]
	v_cvt_f32_f64_e32 v16, v[22:23]
	s_waitcnt lgkmcnt(0)
	v_mul_f32_e32 v24, v112, v4
	v_mul_f32_e32 v3, v112, v5
	v_cvt_f64_f32_e32 v[22:23], v2
	v_add_co_u32 v10, vcc_lo, v30, s3
	v_fma_f32 v2, v111, v5, -v24
	v_cvt_f32_f64_e32 v17, v[32:33]
	v_fmac_f32_e32 v3, v111, v4
	v_add_co_ci_u32_e32 v11, vcc_lo, s2, v31, vcc_lo
	v_cvt_f64_f32_e32 v[26:27], v2
	v_add_nc_u32_e32 v2, 0x1c00, v135
	v_add_co_u32 v4, vcc_lo, v10, s3
	v_cvt_f64_f32_e32 v[24:25], v3
	v_cvt_f32_f64_e32 v30, v[0:1]
	ds_read2_b64 v[0:3], v2 offset0:124 offset1:226
	v_add_co_ci_u32_e32 v5, vcc_lo, s2, v11, vcc_lo
	v_cvt_f64_f32_e32 v[20:21], v20
	v_add_co_u32 v28, vcc_lo, v4, s3
	v_add_co_ci_u32_e32 v29, vcc_lo, s2, v5, vcc_lo
	v_cvt_f32_f64_e32 v31, v[18:19]
	v_add_co_u32 v18, vcc_lo, v28, s3
	v_add_co_ci_u32_e32 v19, vcc_lo, s2, v29, vcc_lo
	global_store_dwordx2 v[10:11], v[8:9], off
	global_store_dwordx2 v[4:5], v[12:13], off
	;; [unrolled: 1-line block ×4, first 2 shown]
	v_mul_f32_e32 v16, v110, v7
	v_mul_f64 v[8:9], v[22:23], s[0:1]
	v_add_co_u32 v10, vcc_lo, v18, s3
	v_mul_f32_e32 v17, v110, v6
	v_fmac_f32_e32 v16, v109, v6
	s_waitcnt lgkmcnt(0)
	v_mul_f32_e32 v6, v108, v1
	v_mul_f32_e32 v18, v108, v0
	v_add_co_ci_u32_e32 v11, vcc_lo, s2, v19, vcc_lo
	v_mul_f64 v[4:5], v[20:21], s[0:1]
	v_fmac_f32_e32 v6, v107, v0
	v_fma_f32 v19, v107, v1, -v18
	v_fma_f32 v7, v109, v7, -v17
	v_mul_f64 v[14:15], v[26:27], s[0:1]
	v_mul_f32_e32 v26, v99, v3
	v_cvt_f64_f32_e32 v[20:21], v6
	v_cvt_f64_f32_e32 v[22:23], v19
	;; [unrolled: 1-line block ×3, first 2 shown]
	v_add_nc_u32_e32 v7, 0x2400, v135
	v_mul_f64 v[12:13], v[24:25], s[0:1]
	v_add_co_u32 v24, vcc_lo, v10, s3
	v_cvt_f32_f64_e32 v19, v[8:9]
	v_add_nc_u32_e32 v8, 0x2800, v135
	global_store_dwordx2 v[10:11], v[30:31], off
	v_add_co_ci_u32_e32 v25, vcc_lo, s2, v11, vcc_lo
	v_mul_f32_e32 v27, v99, v2
	ds_read2_b64 v[8:11], v8 offset0:148 offset1:250
	v_fmac_f32_e32 v26, v98, v2
	v_cvt_f64_f32_e32 v[16:17], v16
	v_cvt_f32_f64_e32 v18, v[4:5]
	ds_read2_b64 v[4:7], v7 offset0:72 offset1:174
	v_fma_f32 v28, v98, v3, -v27
	v_mul_f64 v[2:3], v[20:21], s[0:1]
	v_mul_f64 v[20:21], v[22:23], s[0:1]
	v_cvt_f64_f32_e32 v[22:23], v26
	ds_read_b64 v[26:27], v135 offset:13056
	v_mul_f64 v[0:1], v[0:1], s[0:1]
	v_cvt_f64_f32_e32 v[28:29], v28
	v_cvt_f32_f64_e32 v12, v[12:13]
	v_cvt_f32_f64_e32 v13, v[14:15]
	v_add_co_u32 v14, vcc_lo, v24, s3
	v_add_co_ci_u32_e32 v15, vcc_lo, s2, v25, vcc_lo
	s_waitcnt lgkmcnt(2)
	v_mul_f32_e32 v34, v89, v9
	v_mul_f32_e32 v36, v95, v11
	;; [unrolled: 1-line block ×3, first 2 shown]
	s_waitcnt lgkmcnt(1)
	v_mul_f32_e32 v30, v91, v5
	v_mul_f32_e32 v31, v91, v4
	;; [unrolled: 1-line block ×4, first 2 shown]
	v_fmac_f32_e32 v34, v88, v8
	v_mul_f32_e32 v8, v89, v8
	v_mul_f64 v[16:17], v[16:17], s[0:1]
	v_fmac_f32_e32 v30, v90, v4
	v_fma_f32 v31, v90, v5, -v31
	s_waitcnt lgkmcnt(0)
	v_mul_f32_e32 v38, v97, v27
	v_mul_f32_e32 v39, v97, v26
	v_fmac_f32_e32 v32, v92, v6
	v_fma_f32 v33, v92, v7, -v33
	v_fma_f32 v8, v88, v9, -v8
	v_fmac_f32_e32 v36, v94, v10
	v_fma_f32 v37, v94, v11, -v37
	v_cvt_f64_f32_e32 v[4:5], v30
	v_cvt_f64_f32_e32 v[6:7], v31
	v_fmac_f32_e32 v38, v96, v26
	v_fma_f32 v39, v96, v27, -v39
	v_cvt_f64_f32_e32 v[30:31], v32
	v_cvt_f64_f32_e32 v[32:33], v33
	;; [unrolled: 1-line block ×8, first 2 shown]
	global_store_dwordx2 v[24:25], v[18:19], off
	global_store_dwordx2 v[14:15], v[12:13], off
	v_cvt_f32_f64_e32 v12, v[16:17]
	v_cvt_f32_f64_e32 v13, v[0:1]
	v_mul_f64 v[0:1], v[22:23], s[0:1]
	v_mul_f64 v[16:17], v[28:29], s[0:1]
	v_cvt_f32_f64_e32 v2, v[2:3]
	v_cvt_f32_f64_e32 v3, v[20:21]
	v_add_co_u32 v14, vcc_lo, v14, s3
	v_add_co_ci_u32_e32 v15, vcc_lo, s2, v15, vcc_lo
	v_mul_f64 v[4:5], v[4:5], s[0:1]
	v_mul_f64 v[6:7], v[6:7], s[0:1]
	;; [unrolled: 1-line block ×10, first 2 shown]
	v_add_co_u32 v30, vcc_lo, v14, s3
	v_add_co_ci_u32_e32 v31, vcc_lo, s2, v15, vcc_lo
	v_cvt_f32_f64_e32 v0, v[0:1]
	v_cvt_f32_f64_e32 v1, v[16:17]
	v_add_co_u32 v16, vcc_lo, v30, s3
	v_add_co_ci_u32_e32 v17, vcc_lo, s2, v31, vcc_lo
	global_store_dwordx2 v[14:15], v[12:13], off
	v_cvt_f32_f64_e32 v4, v[4:5]
	v_cvt_f32_f64_e32 v5, v[6:7]
	v_add_co_u32 v6, vcc_lo, v16, s3
	v_add_co_ci_u32_e32 v7, vcc_lo, s2, v17, vcc_lo
	v_cvt_f32_f64_e32 v18, v[18:19]
	v_cvt_f32_f64_e32 v19, v[20:21]
	;; [unrolled: 1-line block ×8, first 2 shown]
	v_add_co_u32 v22, vcc_lo, v6, s3
	v_add_co_ci_u32_e32 v23, vcc_lo, s2, v7, vcc_lo
	global_store_dwordx2 v[30:31], v[2:3], off
	v_add_co_u32 v12, vcc_lo, v22, s3
	v_add_co_ci_u32_e32 v13, vcc_lo, s2, v23, vcc_lo
	global_store_dwordx2 v[16:17], v[0:1], off
	v_add_co_u32 v2, vcc_lo, v12, s3
	v_add_co_ci_u32_e32 v3, vcc_lo, s2, v13, vcc_lo
	v_add_co_u32 v0, vcc_lo, v2, s3
	v_add_co_ci_u32_e32 v1, vcc_lo, s2, v3, vcc_lo
	global_store_dwordx2 v[6:7], v[4:5], off
	global_store_dwordx2 v[22:23], v[18:19], off
	;; [unrolled: 1-line block ×5, first 2 shown]
.LBB0_10:
	s_endpgm
	.section	.rodata,"a",@progbits
	.p2align	6, 0x0
	.amdhsa_kernel bluestein_single_back_len1734_dim1_sp_op_CI_CI
		.amdhsa_group_segment_fixed_size 13872
		.amdhsa_private_segment_fixed_size 0
		.amdhsa_kernarg_size 104
		.amdhsa_user_sgpr_count 6
		.amdhsa_user_sgpr_private_segment_buffer 1
		.amdhsa_user_sgpr_dispatch_ptr 0
		.amdhsa_user_sgpr_queue_ptr 0
		.amdhsa_user_sgpr_kernarg_segment_ptr 1
		.amdhsa_user_sgpr_dispatch_id 0
		.amdhsa_user_sgpr_flat_scratch_init 0
		.amdhsa_user_sgpr_private_segment_size 0
		.amdhsa_wavefront_size32 1
		.amdhsa_uses_dynamic_stack 0
		.amdhsa_system_sgpr_private_segment_wavefront_offset 0
		.amdhsa_system_sgpr_workgroup_id_x 1
		.amdhsa_system_sgpr_workgroup_id_y 0
		.amdhsa_system_sgpr_workgroup_id_z 0
		.amdhsa_system_sgpr_workgroup_info 0
		.amdhsa_system_vgpr_workitem_id 0
		.amdhsa_next_free_vgpr 250
		.amdhsa_next_free_sgpr 20
		.amdhsa_reserve_vcc 1
		.amdhsa_reserve_flat_scratch 0
		.amdhsa_float_round_mode_32 0
		.amdhsa_float_round_mode_16_64 0
		.amdhsa_float_denorm_mode_32 3
		.amdhsa_float_denorm_mode_16_64 3
		.amdhsa_dx10_clamp 1
		.amdhsa_ieee_mode 1
		.amdhsa_fp16_overflow 0
		.amdhsa_workgroup_processor_mode 1
		.amdhsa_memory_ordered 1
		.amdhsa_forward_progress 0
		.amdhsa_shared_vgpr_count 0
		.amdhsa_exception_fp_ieee_invalid_op 0
		.amdhsa_exception_fp_denorm_src 0
		.amdhsa_exception_fp_ieee_div_zero 0
		.amdhsa_exception_fp_ieee_overflow 0
		.amdhsa_exception_fp_ieee_underflow 0
		.amdhsa_exception_fp_ieee_inexact 0
		.amdhsa_exception_int_div_zero 0
	.end_amdhsa_kernel
	.text
.Lfunc_end0:
	.size	bluestein_single_back_len1734_dim1_sp_op_CI_CI, .Lfunc_end0-bluestein_single_back_len1734_dim1_sp_op_CI_CI
                                        ; -- End function
	.section	.AMDGPU.csdata,"",@progbits
; Kernel info:
; codeLenInByte = 27364
; NumSgprs: 22
; NumVgprs: 250
; ScratchSize: 0
; MemoryBound: 0
; FloatMode: 240
; IeeeMode: 1
; LDSByteSize: 13872 bytes/workgroup (compile time only)
; SGPRBlocks: 2
; VGPRBlocks: 31
; NumSGPRsForWavesPerEU: 22
; NumVGPRsForWavesPerEU: 250
; Occupancy: 4
; WaveLimiterHint : 1
; COMPUTE_PGM_RSRC2:SCRATCH_EN: 0
; COMPUTE_PGM_RSRC2:USER_SGPR: 6
; COMPUTE_PGM_RSRC2:TRAP_HANDLER: 0
; COMPUTE_PGM_RSRC2:TGID_X_EN: 1
; COMPUTE_PGM_RSRC2:TGID_Y_EN: 0
; COMPUTE_PGM_RSRC2:TGID_Z_EN: 0
; COMPUTE_PGM_RSRC2:TIDIG_COMP_CNT: 0
	.text
	.p2alignl 6, 3214868480
	.fill 48, 4, 3214868480
	.type	__hip_cuid_1f3b92642b2e94e1,@object ; @__hip_cuid_1f3b92642b2e94e1
	.section	.bss,"aw",@nobits
	.globl	__hip_cuid_1f3b92642b2e94e1
__hip_cuid_1f3b92642b2e94e1:
	.byte	0                               ; 0x0
	.size	__hip_cuid_1f3b92642b2e94e1, 1

	.ident	"AMD clang version 19.0.0git (https://github.com/RadeonOpenCompute/llvm-project roc-6.4.0 25133 c7fe45cf4b819c5991fe208aaa96edf142730f1d)"
	.section	".note.GNU-stack","",@progbits
	.addrsig
	.addrsig_sym __hip_cuid_1f3b92642b2e94e1
	.amdgpu_metadata
---
amdhsa.kernels:
  - .args:
      - .actual_access:  read_only
        .address_space:  global
        .offset:         0
        .size:           8
        .value_kind:     global_buffer
      - .actual_access:  read_only
        .address_space:  global
        .offset:         8
        .size:           8
        .value_kind:     global_buffer
      - .actual_access:  read_only
        .address_space:  global
        .offset:         16
        .size:           8
        .value_kind:     global_buffer
      - .actual_access:  read_only
        .address_space:  global
        .offset:         24
        .size:           8
        .value_kind:     global_buffer
      - .actual_access:  read_only
        .address_space:  global
        .offset:         32
        .size:           8
        .value_kind:     global_buffer
      - .offset:         40
        .size:           8
        .value_kind:     by_value
      - .address_space:  global
        .offset:         48
        .size:           8
        .value_kind:     global_buffer
      - .address_space:  global
        .offset:         56
        .size:           8
        .value_kind:     global_buffer
      - .address_space:  global
        .offset:         64
        .size:           8
        .value_kind:     global_buffer
      - .address_space:  global
        .offset:         72
        .size:           8
        .value_kind:     global_buffer
      - .offset:         80
        .size:           4
        .value_kind:     by_value
      - .address_space:  global
        .offset:         88
        .size:           8
        .value_kind:     global_buffer
      - .address_space:  global
        .offset:         96
        .size:           8
        .value_kind:     global_buffer
    .group_segment_fixed_size: 13872
    .kernarg_segment_align: 8
    .kernarg_segment_size: 104
    .language:       OpenCL C
    .language_version:
      - 2
      - 0
    .max_flat_workgroup_size: 102
    .name:           bluestein_single_back_len1734_dim1_sp_op_CI_CI
    .private_segment_fixed_size: 0
    .sgpr_count:     22
    .sgpr_spill_count: 0
    .symbol:         bluestein_single_back_len1734_dim1_sp_op_CI_CI.kd
    .uniform_work_group_size: 1
    .uses_dynamic_stack: false
    .vgpr_count:     250
    .vgpr_spill_count: 0
    .wavefront_size: 32
    .workgroup_processor_mode: 1
amdhsa.target:   amdgcn-amd-amdhsa--gfx1030
amdhsa.version:
  - 1
  - 2
...

	.end_amdgpu_metadata
